;; amdgpu-corpus repo=ROCm/composable_kernel kind=compiled arch=gfx1100 opt=O3
	.text
	.amdgcn_target "amdgcn-amd-amdhsa--gfx1100"
	.amdhsa_code_object_version 6
	.section	.text._ZN2ckL12flush_icacheEv,"axG",@progbits,_ZN2ckL12flush_icacheEv,comdat
	.globl	_ZN2ckL12flush_icacheEv         ; -- Begin function _ZN2ckL12flush_icacheEv
	.p2align	8
	.type	_ZN2ckL12flush_icacheEv,@function
_ZN2ckL12flush_icacheEv:                ; @_ZN2ckL12flush_icacheEv
; %bb.0:
	;;#ASMSTART
	s_icache_inv 
	s_nop 0 
	s_nop 0 
	;; [unrolled: 1-line block ×16, first 2 shown]
	
	;;#ASMEND
	s_endpgm
	.section	.rodata,"a",@progbits
	.p2align	6, 0x0
	.amdhsa_kernel _ZN2ckL12flush_icacheEv
		.amdhsa_group_segment_fixed_size 0
		.amdhsa_private_segment_fixed_size 0
		.amdhsa_kernarg_size 0
		.amdhsa_user_sgpr_count 15
		.amdhsa_user_sgpr_dispatch_ptr 0
		.amdhsa_user_sgpr_queue_ptr 0
		.amdhsa_user_sgpr_kernarg_segment_ptr 0
		.amdhsa_user_sgpr_dispatch_id 0
		.amdhsa_user_sgpr_private_segment_size 0
		.amdhsa_wavefront_size32 1
		.amdhsa_uses_dynamic_stack 0
		.amdhsa_enable_private_segment 0
		.amdhsa_system_sgpr_workgroup_id_x 1
		.amdhsa_system_sgpr_workgroup_id_y 0
		.amdhsa_system_sgpr_workgroup_id_z 0
		.amdhsa_system_sgpr_workgroup_info 0
		.amdhsa_system_vgpr_workitem_id 0
		.amdhsa_next_free_vgpr 1
		.amdhsa_next_free_sgpr 1
		.amdhsa_reserve_vcc 0
		.amdhsa_float_round_mode_32 0
		.amdhsa_float_round_mode_16_64 0
		.amdhsa_float_denorm_mode_32 3
		.amdhsa_float_denorm_mode_16_64 3
		.amdhsa_dx10_clamp 1
		.amdhsa_ieee_mode 1
		.amdhsa_fp16_overflow 0
		.amdhsa_workgroup_processor_mode 1
		.amdhsa_memory_ordered 1
		.amdhsa_forward_progress 0
		.amdhsa_shared_vgpr_count 0
		.amdhsa_exception_fp_ieee_invalid_op 0
		.amdhsa_exception_fp_denorm_src 0
		.amdhsa_exception_fp_ieee_div_zero 0
		.amdhsa_exception_fp_ieee_overflow 0
		.amdhsa_exception_fp_ieee_underflow 0
		.amdhsa_exception_fp_ieee_inexact 0
		.amdhsa_exception_int_div_zero 0
	.end_amdhsa_kernel
	.section	.text._ZN2ckL12flush_icacheEv,"axG",@progbits,_ZN2ckL12flush_icacheEv,comdat
.Lfunc_end0:
	.size	_ZN2ckL12flush_icacheEv, .Lfunc_end0-_ZN2ckL12flush_icacheEv
                                        ; -- End function
	.section	.AMDGPU.csdata,"",@progbits
; Kernel info:
; codeLenInByte = 344
; NumSgprs: 0
; NumVgprs: 0
; ScratchSize: 0
; MemoryBound: 0
; FloatMode: 240
; IeeeMode: 1
; LDSByteSize: 0 bytes/workgroup (compile time only)
; SGPRBlocks: 0
; VGPRBlocks: 0
; NumSGPRsForWavesPerEU: 1
; NumVGPRsForWavesPerEU: 1
; Occupancy: 16
; WaveLimiterHint : 0
; COMPUTE_PGM_RSRC2:SCRATCH_EN: 0
; COMPUTE_PGM_RSRC2:USER_SGPR: 15
; COMPUTE_PGM_RSRC2:TRAP_HANDLER: 0
; COMPUTE_PGM_RSRC2:TGID_X_EN: 1
; COMPUTE_PGM_RSRC2:TGID_Y_EN: 0
; COMPUTE_PGM_RSRC2:TGID_Z_EN: 0
; COMPUTE_PGM_RSRC2:TIDIG_COMP_CNT: 0
	.section	.text._ZN2ck27kernel_gemm_xdl_cshuffle_v1INS_43GridwiseGemm_k0mk1_k0nk1_mn_xdl_cshuffle_v1INS_13tensor_layout4gemm8RowMajorENS3_11ColumnMajorES4_NS_9f8_fnuz_tENS_10bf8_fnuz_tEffDF16_NS_16tensor_operation12element_wise11PassThroughESA_SA_LNS8_6device18GemmSpecializationE0ELNS_25InMemoryDataOperationEnumE0ELi1ELi256ELi256ELi128ELi64ELi16ELi16ELi16ELi16ELi8ELi4ENS_8SequenceIJLi4ELi64ELi1EEEENSE_IJLi1ELi0ELi2EEEESG_Li2ELi16ELi16ELb0ELi1ESF_SG_SG_Li2ELi8ELi8ELb0ELi1ELi1ELi1ENSE_IJLi1ELi32ELi1ELi8EEEELi4ELNS_13LoopSchedulerE0ELNS_15PipelineVersionE0ES6_S7_EELb1EEEvNT_8ArgumentE,"axG",@progbits,_ZN2ck27kernel_gemm_xdl_cshuffle_v1INS_43GridwiseGemm_k0mk1_k0nk1_mn_xdl_cshuffle_v1INS_13tensor_layout4gemm8RowMajorENS3_11ColumnMajorES4_NS_9f8_fnuz_tENS_10bf8_fnuz_tEffDF16_NS_16tensor_operation12element_wise11PassThroughESA_SA_LNS8_6device18GemmSpecializationE0ELNS_25InMemoryDataOperationEnumE0ELi1ELi256ELi256ELi128ELi64ELi16ELi16ELi16ELi16ELi8ELi4ENS_8SequenceIJLi4ELi64ELi1EEEENSE_IJLi1ELi0ELi2EEEESG_Li2ELi16ELi16ELb0ELi1ESF_SG_SG_Li2ELi8ELi8ELb0ELi1ELi1ELi1ENSE_IJLi1ELi32ELi1ELi8EEEELi4ELNS_13LoopSchedulerE0ELNS_15PipelineVersionE0ES6_S7_EELb1EEEvNT_8ArgumentE,comdat
	.protected	_ZN2ck27kernel_gemm_xdl_cshuffle_v1INS_43GridwiseGemm_k0mk1_k0nk1_mn_xdl_cshuffle_v1INS_13tensor_layout4gemm8RowMajorENS3_11ColumnMajorES4_NS_9f8_fnuz_tENS_10bf8_fnuz_tEffDF16_NS_16tensor_operation12element_wise11PassThroughESA_SA_LNS8_6device18GemmSpecializationE0ELNS_25InMemoryDataOperationEnumE0ELi1ELi256ELi256ELi128ELi64ELi16ELi16ELi16ELi16ELi8ELi4ENS_8SequenceIJLi4ELi64ELi1EEEENSE_IJLi1ELi0ELi2EEEESG_Li2ELi16ELi16ELb0ELi1ESF_SG_SG_Li2ELi8ELi8ELb0ELi1ELi1ELi1ENSE_IJLi1ELi32ELi1ELi8EEEELi4ELNS_13LoopSchedulerE0ELNS_15PipelineVersionE0ES6_S7_EELb1EEEvNT_8ArgumentE ; -- Begin function _ZN2ck27kernel_gemm_xdl_cshuffle_v1INS_43GridwiseGemm_k0mk1_k0nk1_mn_xdl_cshuffle_v1INS_13tensor_layout4gemm8RowMajorENS3_11ColumnMajorES4_NS_9f8_fnuz_tENS_10bf8_fnuz_tEffDF16_NS_16tensor_operation12element_wise11PassThroughESA_SA_LNS8_6device18GemmSpecializationE0ELNS_25InMemoryDataOperationEnumE0ELi1ELi256ELi256ELi128ELi64ELi16ELi16ELi16ELi16ELi8ELi4ENS_8SequenceIJLi4ELi64ELi1EEEENSE_IJLi1ELi0ELi2EEEESG_Li2ELi16ELi16ELb0ELi1ESF_SG_SG_Li2ELi8ELi8ELb0ELi1ELi1ELi1ENSE_IJLi1ELi32ELi1ELi8EEEELi4ELNS_13LoopSchedulerE0ELNS_15PipelineVersionE0ES6_S7_EELb1EEEvNT_8ArgumentE
	.globl	_ZN2ck27kernel_gemm_xdl_cshuffle_v1INS_43GridwiseGemm_k0mk1_k0nk1_mn_xdl_cshuffle_v1INS_13tensor_layout4gemm8RowMajorENS3_11ColumnMajorES4_NS_9f8_fnuz_tENS_10bf8_fnuz_tEffDF16_NS_16tensor_operation12element_wise11PassThroughESA_SA_LNS8_6device18GemmSpecializationE0ELNS_25InMemoryDataOperationEnumE0ELi1ELi256ELi256ELi128ELi64ELi16ELi16ELi16ELi16ELi8ELi4ENS_8SequenceIJLi4ELi64ELi1EEEENSE_IJLi1ELi0ELi2EEEESG_Li2ELi16ELi16ELb0ELi1ESF_SG_SG_Li2ELi8ELi8ELb0ELi1ELi1ELi1ENSE_IJLi1ELi32ELi1ELi8EEEELi4ELNS_13LoopSchedulerE0ELNS_15PipelineVersionE0ES6_S7_EELb1EEEvNT_8ArgumentE
	.p2align	8
	.type	_ZN2ck27kernel_gemm_xdl_cshuffle_v1INS_43GridwiseGemm_k0mk1_k0nk1_mn_xdl_cshuffle_v1INS_13tensor_layout4gemm8RowMajorENS3_11ColumnMajorES4_NS_9f8_fnuz_tENS_10bf8_fnuz_tEffDF16_NS_16tensor_operation12element_wise11PassThroughESA_SA_LNS8_6device18GemmSpecializationE0ELNS_25InMemoryDataOperationEnumE0ELi1ELi256ELi256ELi128ELi64ELi16ELi16ELi16ELi16ELi8ELi4ENS_8SequenceIJLi4ELi64ELi1EEEENSE_IJLi1ELi0ELi2EEEESG_Li2ELi16ELi16ELb0ELi1ESF_SG_SG_Li2ELi8ELi8ELb0ELi1ELi1ELi1ENSE_IJLi1ELi32ELi1ELi8EEEELi4ELNS_13LoopSchedulerE0ELNS_15PipelineVersionE0ES6_S7_EELb1EEEvNT_8ArgumentE,@function
_ZN2ck27kernel_gemm_xdl_cshuffle_v1INS_43GridwiseGemm_k0mk1_k0nk1_mn_xdl_cshuffle_v1INS_13tensor_layout4gemm8RowMajorENS3_11ColumnMajorES4_NS_9f8_fnuz_tENS_10bf8_fnuz_tEffDF16_NS_16tensor_operation12element_wise11PassThroughESA_SA_LNS8_6device18GemmSpecializationE0ELNS_25InMemoryDataOperationEnumE0ELi1ELi256ELi256ELi128ELi64ELi16ELi16ELi16ELi16ELi8ELi4ENS_8SequenceIJLi4ELi64ELi1EEEENSE_IJLi1ELi0ELi2EEEESG_Li2ELi16ELi16ELb0ELi1ESF_SG_SG_Li2ELi8ELi8ELb0ELi1ELi1ELi1ENSE_IJLi1ELi32ELi1ELi8EEEELi4ELNS_13LoopSchedulerE0ELNS_15PipelineVersionE0ES6_S7_EELb1EEEvNT_8ArgumentE: ; @_ZN2ck27kernel_gemm_xdl_cshuffle_v1INS_43GridwiseGemm_k0mk1_k0nk1_mn_xdl_cshuffle_v1INS_13tensor_layout4gemm8RowMajorENS3_11ColumnMajorES4_NS_9f8_fnuz_tENS_10bf8_fnuz_tEffDF16_NS_16tensor_operation12element_wise11PassThroughESA_SA_LNS8_6device18GemmSpecializationE0ELNS_25InMemoryDataOperationEnumE0ELi1ELi256ELi256ELi128ELi64ELi16ELi16ELi16ELi16ELi8ELi4ENS_8SequenceIJLi4ELi64ELi1EEEENSE_IJLi1ELi0ELi2EEEESG_Li2ELi16ELi16ELb0ELi1ESF_SG_SG_Li2ELi8ELi8ELb0ELi1ELi1ELi1ENSE_IJLi1ELi32ELi1ELi8EEEELi4ELNS_13LoopSchedulerE0ELNS_15PipelineVersionE0ES6_S7_EELb1EEEvNT_8ArgumentE
; %bb.0:
	s_endpgm
	.section	.rodata,"a",@progbits
	.p2align	6, 0x0
	.amdhsa_kernel _ZN2ck27kernel_gemm_xdl_cshuffle_v1INS_43GridwiseGemm_k0mk1_k0nk1_mn_xdl_cshuffle_v1INS_13tensor_layout4gemm8RowMajorENS3_11ColumnMajorES4_NS_9f8_fnuz_tENS_10bf8_fnuz_tEffDF16_NS_16tensor_operation12element_wise11PassThroughESA_SA_LNS8_6device18GemmSpecializationE0ELNS_25InMemoryDataOperationEnumE0ELi1ELi256ELi256ELi128ELi64ELi16ELi16ELi16ELi16ELi8ELi4ENS_8SequenceIJLi4ELi64ELi1EEEENSE_IJLi1ELi0ELi2EEEESG_Li2ELi16ELi16ELb0ELi1ESF_SG_SG_Li2ELi8ELi8ELb0ELi1ELi1ELi1ENSE_IJLi1ELi32ELi1ELi8EEEELi4ELNS_13LoopSchedulerE0ELNS_15PipelineVersionE0ES6_S7_EELb1EEEvNT_8ArgumentE
		.amdhsa_group_segment_fixed_size 0
		.amdhsa_private_segment_fixed_size 0
		.amdhsa_kernarg_size 96
		.amdhsa_user_sgpr_count 15
		.amdhsa_user_sgpr_dispatch_ptr 0
		.amdhsa_user_sgpr_queue_ptr 0
		.amdhsa_user_sgpr_kernarg_segment_ptr 1
		.amdhsa_user_sgpr_dispatch_id 0
		.amdhsa_user_sgpr_private_segment_size 0
		.amdhsa_wavefront_size32 1
		.amdhsa_uses_dynamic_stack 0
		.amdhsa_enable_private_segment 0
		.amdhsa_system_sgpr_workgroup_id_x 1
		.amdhsa_system_sgpr_workgroup_id_y 0
		.amdhsa_system_sgpr_workgroup_id_z 0
		.amdhsa_system_sgpr_workgroup_info 0
		.amdhsa_system_vgpr_workitem_id 0
		.amdhsa_next_free_vgpr 1
		.amdhsa_next_free_sgpr 1
		.amdhsa_reserve_vcc 0
		.amdhsa_float_round_mode_32 0
		.amdhsa_float_round_mode_16_64 0
		.amdhsa_float_denorm_mode_32 3
		.amdhsa_float_denorm_mode_16_64 3
		.amdhsa_dx10_clamp 1
		.amdhsa_ieee_mode 1
		.amdhsa_fp16_overflow 0
		.amdhsa_workgroup_processor_mode 1
		.amdhsa_memory_ordered 1
		.amdhsa_forward_progress 0
		.amdhsa_shared_vgpr_count 0
		.amdhsa_exception_fp_ieee_invalid_op 0
		.amdhsa_exception_fp_denorm_src 0
		.amdhsa_exception_fp_ieee_div_zero 0
		.amdhsa_exception_fp_ieee_overflow 0
		.amdhsa_exception_fp_ieee_underflow 0
		.amdhsa_exception_fp_ieee_inexact 0
		.amdhsa_exception_int_div_zero 0
	.end_amdhsa_kernel
	.section	.text._ZN2ck27kernel_gemm_xdl_cshuffle_v1INS_43GridwiseGemm_k0mk1_k0nk1_mn_xdl_cshuffle_v1INS_13tensor_layout4gemm8RowMajorENS3_11ColumnMajorES4_NS_9f8_fnuz_tENS_10bf8_fnuz_tEffDF16_NS_16tensor_operation12element_wise11PassThroughESA_SA_LNS8_6device18GemmSpecializationE0ELNS_25InMemoryDataOperationEnumE0ELi1ELi256ELi256ELi128ELi64ELi16ELi16ELi16ELi16ELi8ELi4ENS_8SequenceIJLi4ELi64ELi1EEEENSE_IJLi1ELi0ELi2EEEESG_Li2ELi16ELi16ELb0ELi1ESF_SG_SG_Li2ELi8ELi8ELb0ELi1ELi1ELi1ENSE_IJLi1ELi32ELi1ELi8EEEELi4ELNS_13LoopSchedulerE0ELNS_15PipelineVersionE0ES6_S7_EELb1EEEvNT_8ArgumentE,"axG",@progbits,_ZN2ck27kernel_gemm_xdl_cshuffle_v1INS_43GridwiseGemm_k0mk1_k0nk1_mn_xdl_cshuffle_v1INS_13tensor_layout4gemm8RowMajorENS3_11ColumnMajorES4_NS_9f8_fnuz_tENS_10bf8_fnuz_tEffDF16_NS_16tensor_operation12element_wise11PassThroughESA_SA_LNS8_6device18GemmSpecializationE0ELNS_25InMemoryDataOperationEnumE0ELi1ELi256ELi256ELi128ELi64ELi16ELi16ELi16ELi16ELi8ELi4ENS_8SequenceIJLi4ELi64ELi1EEEENSE_IJLi1ELi0ELi2EEEESG_Li2ELi16ELi16ELb0ELi1ESF_SG_SG_Li2ELi8ELi8ELb0ELi1ELi1ELi1ENSE_IJLi1ELi32ELi1ELi8EEEELi4ELNS_13LoopSchedulerE0ELNS_15PipelineVersionE0ES6_S7_EELb1EEEvNT_8ArgumentE,comdat
.Lfunc_end1:
	.size	_ZN2ck27kernel_gemm_xdl_cshuffle_v1INS_43GridwiseGemm_k0mk1_k0nk1_mn_xdl_cshuffle_v1INS_13tensor_layout4gemm8RowMajorENS3_11ColumnMajorES4_NS_9f8_fnuz_tENS_10bf8_fnuz_tEffDF16_NS_16tensor_operation12element_wise11PassThroughESA_SA_LNS8_6device18GemmSpecializationE0ELNS_25InMemoryDataOperationEnumE0ELi1ELi256ELi256ELi128ELi64ELi16ELi16ELi16ELi16ELi8ELi4ENS_8SequenceIJLi4ELi64ELi1EEEENSE_IJLi1ELi0ELi2EEEESG_Li2ELi16ELi16ELb0ELi1ESF_SG_SG_Li2ELi8ELi8ELb0ELi1ELi1ELi1ENSE_IJLi1ELi32ELi1ELi8EEEELi4ELNS_13LoopSchedulerE0ELNS_15PipelineVersionE0ES6_S7_EELb1EEEvNT_8ArgumentE, .Lfunc_end1-_ZN2ck27kernel_gemm_xdl_cshuffle_v1INS_43GridwiseGemm_k0mk1_k0nk1_mn_xdl_cshuffle_v1INS_13tensor_layout4gemm8RowMajorENS3_11ColumnMajorES4_NS_9f8_fnuz_tENS_10bf8_fnuz_tEffDF16_NS_16tensor_operation12element_wise11PassThroughESA_SA_LNS8_6device18GemmSpecializationE0ELNS_25InMemoryDataOperationEnumE0ELi1ELi256ELi256ELi128ELi64ELi16ELi16ELi16ELi16ELi8ELi4ENS_8SequenceIJLi4ELi64ELi1EEEENSE_IJLi1ELi0ELi2EEEESG_Li2ELi16ELi16ELb0ELi1ESF_SG_SG_Li2ELi8ELi8ELb0ELi1ELi1ELi1ENSE_IJLi1ELi32ELi1ELi8EEEELi4ELNS_13LoopSchedulerE0ELNS_15PipelineVersionE0ES6_S7_EELb1EEEvNT_8ArgumentE
                                        ; -- End function
	.section	.AMDGPU.csdata,"",@progbits
; Kernel info:
; codeLenInByte = 4
; NumSgprs: 0
; NumVgprs: 0
; ScratchSize: 0
; MemoryBound: 0
; FloatMode: 240
; IeeeMode: 1
; LDSByteSize: 0 bytes/workgroup (compile time only)
; SGPRBlocks: 0
; VGPRBlocks: 0
; NumSGPRsForWavesPerEU: 1
; NumVGPRsForWavesPerEU: 1
; Occupancy: 16
; WaveLimiterHint : 0
; COMPUTE_PGM_RSRC2:SCRATCH_EN: 0
; COMPUTE_PGM_RSRC2:USER_SGPR: 15
; COMPUTE_PGM_RSRC2:TRAP_HANDLER: 0
; COMPUTE_PGM_RSRC2:TGID_X_EN: 1
; COMPUTE_PGM_RSRC2:TGID_Y_EN: 0
; COMPUTE_PGM_RSRC2:TGID_Z_EN: 0
; COMPUTE_PGM_RSRC2:TIDIG_COMP_CNT: 0
	.section	.text._ZN2ck27kernel_gemm_xdl_cshuffle_v1INS_43GridwiseGemm_k0mk1_k0nk1_mn_xdl_cshuffle_v1INS_13tensor_layout4gemm8RowMajorENS3_11ColumnMajorES4_NS_9f8_fnuz_tENS_10bf8_fnuz_tEffDF16_NS_16tensor_operation12element_wise11PassThroughESA_SA_LNS8_6device18GemmSpecializationE0ELNS_25InMemoryDataOperationEnumE0ELi1ELi256ELi256ELi128ELi64ELi16ELi16ELi16ELi16ELi8ELi4ENS_8SequenceIJLi4ELi64ELi1EEEENSE_IJLi1ELi0ELi2EEEESG_Li2ELi16ELi16ELb0ELi1ESF_SG_SG_Li2ELi8ELi8ELb0ELi1ELi1ELi1ENSE_IJLi1ELi32ELi1ELi8EEEELi4ELNS_13LoopSchedulerE0ELNS_15PipelineVersionE0ES6_S7_EELb0EEEvNT_8ArgumentE,"axG",@progbits,_ZN2ck27kernel_gemm_xdl_cshuffle_v1INS_43GridwiseGemm_k0mk1_k0nk1_mn_xdl_cshuffle_v1INS_13tensor_layout4gemm8RowMajorENS3_11ColumnMajorES4_NS_9f8_fnuz_tENS_10bf8_fnuz_tEffDF16_NS_16tensor_operation12element_wise11PassThroughESA_SA_LNS8_6device18GemmSpecializationE0ELNS_25InMemoryDataOperationEnumE0ELi1ELi256ELi256ELi128ELi64ELi16ELi16ELi16ELi16ELi8ELi4ENS_8SequenceIJLi4ELi64ELi1EEEENSE_IJLi1ELi0ELi2EEEESG_Li2ELi16ELi16ELb0ELi1ESF_SG_SG_Li2ELi8ELi8ELb0ELi1ELi1ELi1ENSE_IJLi1ELi32ELi1ELi8EEEELi4ELNS_13LoopSchedulerE0ELNS_15PipelineVersionE0ES6_S7_EELb0EEEvNT_8ArgumentE,comdat
	.protected	_ZN2ck27kernel_gemm_xdl_cshuffle_v1INS_43GridwiseGemm_k0mk1_k0nk1_mn_xdl_cshuffle_v1INS_13tensor_layout4gemm8RowMajorENS3_11ColumnMajorES4_NS_9f8_fnuz_tENS_10bf8_fnuz_tEffDF16_NS_16tensor_operation12element_wise11PassThroughESA_SA_LNS8_6device18GemmSpecializationE0ELNS_25InMemoryDataOperationEnumE0ELi1ELi256ELi256ELi128ELi64ELi16ELi16ELi16ELi16ELi8ELi4ENS_8SequenceIJLi4ELi64ELi1EEEENSE_IJLi1ELi0ELi2EEEESG_Li2ELi16ELi16ELb0ELi1ESF_SG_SG_Li2ELi8ELi8ELb0ELi1ELi1ELi1ENSE_IJLi1ELi32ELi1ELi8EEEELi4ELNS_13LoopSchedulerE0ELNS_15PipelineVersionE0ES6_S7_EELb0EEEvNT_8ArgumentE ; -- Begin function _ZN2ck27kernel_gemm_xdl_cshuffle_v1INS_43GridwiseGemm_k0mk1_k0nk1_mn_xdl_cshuffle_v1INS_13tensor_layout4gemm8RowMajorENS3_11ColumnMajorES4_NS_9f8_fnuz_tENS_10bf8_fnuz_tEffDF16_NS_16tensor_operation12element_wise11PassThroughESA_SA_LNS8_6device18GemmSpecializationE0ELNS_25InMemoryDataOperationEnumE0ELi1ELi256ELi256ELi128ELi64ELi16ELi16ELi16ELi16ELi8ELi4ENS_8SequenceIJLi4ELi64ELi1EEEENSE_IJLi1ELi0ELi2EEEESG_Li2ELi16ELi16ELb0ELi1ESF_SG_SG_Li2ELi8ELi8ELb0ELi1ELi1ELi1ENSE_IJLi1ELi32ELi1ELi8EEEELi4ELNS_13LoopSchedulerE0ELNS_15PipelineVersionE0ES6_S7_EELb0EEEvNT_8ArgumentE
	.globl	_ZN2ck27kernel_gemm_xdl_cshuffle_v1INS_43GridwiseGemm_k0mk1_k0nk1_mn_xdl_cshuffle_v1INS_13tensor_layout4gemm8RowMajorENS3_11ColumnMajorES4_NS_9f8_fnuz_tENS_10bf8_fnuz_tEffDF16_NS_16tensor_operation12element_wise11PassThroughESA_SA_LNS8_6device18GemmSpecializationE0ELNS_25InMemoryDataOperationEnumE0ELi1ELi256ELi256ELi128ELi64ELi16ELi16ELi16ELi16ELi8ELi4ENS_8SequenceIJLi4ELi64ELi1EEEENSE_IJLi1ELi0ELi2EEEESG_Li2ELi16ELi16ELb0ELi1ESF_SG_SG_Li2ELi8ELi8ELb0ELi1ELi1ELi1ENSE_IJLi1ELi32ELi1ELi8EEEELi4ELNS_13LoopSchedulerE0ELNS_15PipelineVersionE0ES6_S7_EELb0EEEvNT_8ArgumentE
	.p2align	8
	.type	_ZN2ck27kernel_gemm_xdl_cshuffle_v1INS_43GridwiseGemm_k0mk1_k0nk1_mn_xdl_cshuffle_v1INS_13tensor_layout4gemm8RowMajorENS3_11ColumnMajorES4_NS_9f8_fnuz_tENS_10bf8_fnuz_tEffDF16_NS_16tensor_operation12element_wise11PassThroughESA_SA_LNS8_6device18GemmSpecializationE0ELNS_25InMemoryDataOperationEnumE0ELi1ELi256ELi256ELi128ELi64ELi16ELi16ELi16ELi16ELi8ELi4ENS_8SequenceIJLi4ELi64ELi1EEEENSE_IJLi1ELi0ELi2EEEESG_Li2ELi16ELi16ELb0ELi1ESF_SG_SG_Li2ELi8ELi8ELb0ELi1ELi1ELi1ENSE_IJLi1ELi32ELi1ELi8EEEELi4ELNS_13LoopSchedulerE0ELNS_15PipelineVersionE0ES6_S7_EELb0EEEvNT_8ArgumentE,@function
_ZN2ck27kernel_gemm_xdl_cshuffle_v1INS_43GridwiseGemm_k0mk1_k0nk1_mn_xdl_cshuffle_v1INS_13tensor_layout4gemm8RowMajorENS3_11ColumnMajorES4_NS_9f8_fnuz_tENS_10bf8_fnuz_tEffDF16_NS_16tensor_operation12element_wise11PassThroughESA_SA_LNS8_6device18GemmSpecializationE0ELNS_25InMemoryDataOperationEnumE0ELi1ELi256ELi256ELi128ELi64ELi16ELi16ELi16ELi16ELi8ELi4ENS_8SequenceIJLi4ELi64ELi1EEEENSE_IJLi1ELi0ELi2EEEESG_Li2ELi16ELi16ELb0ELi1ESF_SG_SG_Li2ELi8ELi8ELb0ELi1ELi1ELi1ENSE_IJLi1ELi32ELi1ELi8EEEELi4ELNS_13LoopSchedulerE0ELNS_15PipelineVersionE0ES6_S7_EELb0EEEvNT_8ArgumentE: ; @_ZN2ck27kernel_gemm_xdl_cshuffle_v1INS_43GridwiseGemm_k0mk1_k0nk1_mn_xdl_cshuffle_v1INS_13tensor_layout4gemm8RowMajorENS3_11ColumnMajorES4_NS_9f8_fnuz_tENS_10bf8_fnuz_tEffDF16_NS_16tensor_operation12element_wise11PassThroughESA_SA_LNS8_6device18GemmSpecializationE0ELNS_25InMemoryDataOperationEnumE0ELi1ELi256ELi256ELi128ELi64ELi16ELi16ELi16ELi16ELi8ELi4ENS_8SequenceIJLi4ELi64ELi1EEEENSE_IJLi1ELi0ELi2EEEESG_Li2ELi16ELi16ELb0ELi1ESF_SG_SG_Li2ELi8ELi8ELb0ELi1ELi1ELi1ENSE_IJLi1ELi32ELi1ELi8EEEELi4ELNS_13LoopSchedulerE0ELNS_15PipelineVersionE0ES6_S7_EELb0EEEvNT_8ArgumentE
; %bb.0:
	s_endpgm
	.section	.rodata,"a",@progbits
	.p2align	6, 0x0
	.amdhsa_kernel _ZN2ck27kernel_gemm_xdl_cshuffle_v1INS_43GridwiseGemm_k0mk1_k0nk1_mn_xdl_cshuffle_v1INS_13tensor_layout4gemm8RowMajorENS3_11ColumnMajorES4_NS_9f8_fnuz_tENS_10bf8_fnuz_tEffDF16_NS_16tensor_operation12element_wise11PassThroughESA_SA_LNS8_6device18GemmSpecializationE0ELNS_25InMemoryDataOperationEnumE0ELi1ELi256ELi256ELi128ELi64ELi16ELi16ELi16ELi16ELi8ELi4ENS_8SequenceIJLi4ELi64ELi1EEEENSE_IJLi1ELi0ELi2EEEESG_Li2ELi16ELi16ELb0ELi1ESF_SG_SG_Li2ELi8ELi8ELb0ELi1ELi1ELi1ENSE_IJLi1ELi32ELi1ELi8EEEELi4ELNS_13LoopSchedulerE0ELNS_15PipelineVersionE0ES6_S7_EELb0EEEvNT_8ArgumentE
		.amdhsa_group_segment_fixed_size 0
		.amdhsa_private_segment_fixed_size 0
		.amdhsa_kernarg_size 96
		.amdhsa_user_sgpr_count 15
		.amdhsa_user_sgpr_dispatch_ptr 0
		.amdhsa_user_sgpr_queue_ptr 0
		.amdhsa_user_sgpr_kernarg_segment_ptr 1
		.amdhsa_user_sgpr_dispatch_id 0
		.amdhsa_user_sgpr_private_segment_size 0
		.amdhsa_wavefront_size32 1
		.amdhsa_uses_dynamic_stack 0
		.amdhsa_enable_private_segment 0
		.amdhsa_system_sgpr_workgroup_id_x 1
		.amdhsa_system_sgpr_workgroup_id_y 0
		.amdhsa_system_sgpr_workgroup_id_z 0
		.amdhsa_system_sgpr_workgroup_info 0
		.amdhsa_system_vgpr_workitem_id 0
		.amdhsa_next_free_vgpr 1
		.amdhsa_next_free_sgpr 1
		.amdhsa_reserve_vcc 0
		.amdhsa_float_round_mode_32 0
		.amdhsa_float_round_mode_16_64 0
		.amdhsa_float_denorm_mode_32 3
		.amdhsa_float_denorm_mode_16_64 3
		.amdhsa_dx10_clamp 1
		.amdhsa_ieee_mode 1
		.amdhsa_fp16_overflow 0
		.amdhsa_workgroup_processor_mode 1
		.amdhsa_memory_ordered 1
		.amdhsa_forward_progress 0
		.amdhsa_shared_vgpr_count 0
		.amdhsa_exception_fp_ieee_invalid_op 0
		.amdhsa_exception_fp_denorm_src 0
		.amdhsa_exception_fp_ieee_div_zero 0
		.amdhsa_exception_fp_ieee_overflow 0
		.amdhsa_exception_fp_ieee_underflow 0
		.amdhsa_exception_fp_ieee_inexact 0
		.amdhsa_exception_int_div_zero 0
	.end_amdhsa_kernel
	.section	.text._ZN2ck27kernel_gemm_xdl_cshuffle_v1INS_43GridwiseGemm_k0mk1_k0nk1_mn_xdl_cshuffle_v1INS_13tensor_layout4gemm8RowMajorENS3_11ColumnMajorES4_NS_9f8_fnuz_tENS_10bf8_fnuz_tEffDF16_NS_16tensor_operation12element_wise11PassThroughESA_SA_LNS8_6device18GemmSpecializationE0ELNS_25InMemoryDataOperationEnumE0ELi1ELi256ELi256ELi128ELi64ELi16ELi16ELi16ELi16ELi8ELi4ENS_8SequenceIJLi4ELi64ELi1EEEENSE_IJLi1ELi0ELi2EEEESG_Li2ELi16ELi16ELb0ELi1ESF_SG_SG_Li2ELi8ELi8ELb0ELi1ELi1ELi1ENSE_IJLi1ELi32ELi1ELi8EEEELi4ELNS_13LoopSchedulerE0ELNS_15PipelineVersionE0ES6_S7_EELb0EEEvNT_8ArgumentE,"axG",@progbits,_ZN2ck27kernel_gemm_xdl_cshuffle_v1INS_43GridwiseGemm_k0mk1_k0nk1_mn_xdl_cshuffle_v1INS_13tensor_layout4gemm8RowMajorENS3_11ColumnMajorES4_NS_9f8_fnuz_tENS_10bf8_fnuz_tEffDF16_NS_16tensor_operation12element_wise11PassThroughESA_SA_LNS8_6device18GemmSpecializationE0ELNS_25InMemoryDataOperationEnumE0ELi1ELi256ELi256ELi128ELi64ELi16ELi16ELi16ELi16ELi8ELi4ENS_8SequenceIJLi4ELi64ELi1EEEENSE_IJLi1ELi0ELi2EEEESG_Li2ELi16ELi16ELb0ELi1ESF_SG_SG_Li2ELi8ELi8ELb0ELi1ELi1ELi1ENSE_IJLi1ELi32ELi1ELi8EEEELi4ELNS_13LoopSchedulerE0ELNS_15PipelineVersionE0ES6_S7_EELb0EEEvNT_8ArgumentE,comdat
.Lfunc_end2:
	.size	_ZN2ck27kernel_gemm_xdl_cshuffle_v1INS_43GridwiseGemm_k0mk1_k0nk1_mn_xdl_cshuffle_v1INS_13tensor_layout4gemm8RowMajorENS3_11ColumnMajorES4_NS_9f8_fnuz_tENS_10bf8_fnuz_tEffDF16_NS_16tensor_operation12element_wise11PassThroughESA_SA_LNS8_6device18GemmSpecializationE0ELNS_25InMemoryDataOperationEnumE0ELi1ELi256ELi256ELi128ELi64ELi16ELi16ELi16ELi16ELi8ELi4ENS_8SequenceIJLi4ELi64ELi1EEEENSE_IJLi1ELi0ELi2EEEESG_Li2ELi16ELi16ELb0ELi1ESF_SG_SG_Li2ELi8ELi8ELb0ELi1ELi1ELi1ENSE_IJLi1ELi32ELi1ELi8EEEELi4ELNS_13LoopSchedulerE0ELNS_15PipelineVersionE0ES6_S7_EELb0EEEvNT_8ArgumentE, .Lfunc_end2-_ZN2ck27kernel_gemm_xdl_cshuffle_v1INS_43GridwiseGemm_k0mk1_k0nk1_mn_xdl_cshuffle_v1INS_13tensor_layout4gemm8RowMajorENS3_11ColumnMajorES4_NS_9f8_fnuz_tENS_10bf8_fnuz_tEffDF16_NS_16tensor_operation12element_wise11PassThroughESA_SA_LNS8_6device18GemmSpecializationE0ELNS_25InMemoryDataOperationEnumE0ELi1ELi256ELi256ELi128ELi64ELi16ELi16ELi16ELi16ELi8ELi4ENS_8SequenceIJLi4ELi64ELi1EEEENSE_IJLi1ELi0ELi2EEEESG_Li2ELi16ELi16ELb0ELi1ESF_SG_SG_Li2ELi8ELi8ELb0ELi1ELi1ELi1ENSE_IJLi1ELi32ELi1ELi8EEEELi4ELNS_13LoopSchedulerE0ELNS_15PipelineVersionE0ES6_S7_EELb0EEEvNT_8ArgumentE
                                        ; -- End function
	.section	.AMDGPU.csdata,"",@progbits
; Kernel info:
; codeLenInByte = 4
; NumSgprs: 0
; NumVgprs: 0
; ScratchSize: 0
; MemoryBound: 0
; FloatMode: 240
; IeeeMode: 1
; LDSByteSize: 0 bytes/workgroup (compile time only)
; SGPRBlocks: 0
; VGPRBlocks: 0
; NumSGPRsForWavesPerEU: 1
; NumVGPRsForWavesPerEU: 1
; Occupancy: 16
; WaveLimiterHint : 0
; COMPUTE_PGM_RSRC2:SCRATCH_EN: 0
; COMPUTE_PGM_RSRC2:USER_SGPR: 15
; COMPUTE_PGM_RSRC2:TRAP_HANDLER: 0
; COMPUTE_PGM_RSRC2:TGID_X_EN: 1
; COMPUTE_PGM_RSRC2:TGID_Y_EN: 0
; COMPUTE_PGM_RSRC2:TGID_Z_EN: 0
; COMPUTE_PGM_RSRC2:TIDIG_COMP_CNT: 0
	.section	.text._ZN2ck27kernel_gemm_xdl_cshuffle_v1INS_43GridwiseGemm_k0mk1_k0nk1_mn_xdl_cshuffle_v1INS_13tensor_layout4gemm8RowMajorENS3_11ColumnMajorES4_NS_9f8_fnuz_tENS_10bf8_fnuz_tEffDF16_NS_16tensor_operation12element_wise11PassThroughESA_SA_LNS8_6device18GemmSpecializationE0ELNS_25InMemoryDataOperationEnumE0ELi1ELi256ELi256ELi128ELi64ELi16ELi16ELi16ELi16ELi8ELi2ENS_8SequenceIJLi4ELi64ELi1EEEENSE_IJLi1ELi0ELi2EEEESG_Li2ELi16ELi16ELb0ELi1ESF_SG_SG_Li2ELi8ELi8ELb0ELi1ELi1ELi1ENSE_IJLi1ELi32ELi1ELi8EEEELi4ELNS_13LoopSchedulerE0ELNS_15PipelineVersionE0ES6_S7_EELb1EEEvNT_8ArgumentE,"axG",@progbits,_ZN2ck27kernel_gemm_xdl_cshuffle_v1INS_43GridwiseGemm_k0mk1_k0nk1_mn_xdl_cshuffle_v1INS_13tensor_layout4gemm8RowMajorENS3_11ColumnMajorES4_NS_9f8_fnuz_tENS_10bf8_fnuz_tEffDF16_NS_16tensor_operation12element_wise11PassThroughESA_SA_LNS8_6device18GemmSpecializationE0ELNS_25InMemoryDataOperationEnumE0ELi1ELi256ELi256ELi128ELi64ELi16ELi16ELi16ELi16ELi8ELi2ENS_8SequenceIJLi4ELi64ELi1EEEENSE_IJLi1ELi0ELi2EEEESG_Li2ELi16ELi16ELb0ELi1ESF_SG_SG_Li2ELi8ELi8ELb0ELi1ELi1ELi1ENSE_IJLi1ELi32ELi1ELi8EEEELi4ELNS_13LoopSchedulerE0ELNS_15PipelineVersionE0ES6_S7_EELb1EEEvNT_8ArgumentE,comdat
	.protected	_ZN2ck27kernel_gemm_xdl_cshuffle_v1INS_43GridwiseGemm_k0mk1_k0nk1_mn_xdl_cshuffle_v1INS_13tensor_layout4gemm8RowMajorENS3_11ColumnMajorES4_NS_9f8_fnuz_tENS_10bf8_fnuz_tEffDF16_NS_16tensor_operation12element_wise11PassThroughESA_SA_LNS8_6device18GemmSpecializationE0ELNS_25InMemoryDataOperationEnumE0ELi1ELi256ELi256ELi128ELi64ELi16ELi16ELi16ELi16ELi8ELi2ENS_8SequenceIJLi4ELi64ELi1EEEENSE_IJLi1ELi0ELi2EEEESG_Li2ELi16ELi16ELb0ELi1ESF_SG_SG_Li2ELi8ELi8ELb0ELi1ELi1ELi1ENSE_IJLi1ELi32ELi1ELi8EEEELi4ELNS_13LoopSchedulerE0ELNS_15PipelineVersionE0ES6_S7_EELb1EEEvNT_8ArgumentE ; -- Begin function _ZN2ck27kernel_gemm_xdl_cshuffle_v1INS_43GridwiseGemm_k0mk1_k0nk1_mn_xdl_cshuffle_v1INS_13tensor_layout4gemm8RowMajorENS3_11ColumnMajorES4_NS_9f8_fnuz_tENS_10bf8_fnuz_tEffDF16_NS_16tensor_operation12element_wise11PassThroughESA_SA_LNS8_6device18GemmSpecializationE0ELNS_25InMemoryDataOperationEnumE0ELi1ELi256ELi256ELi128ELi64ELi16ELi16ELi16ELi16ELi8ELi2ENS_8SequenceIJLi4ELi64ELi1EEEENSE_IJLi1ELi0ELi2EEEESG_Li2ELi16ELi16ELb0ELi1ESF_SG_SG_Li2ELi8ELi8ELb0ELi1ELi1ELi1ENSE_IJLi1ELi32ELi1ELi8EEEELi4ELNS_13LoopSchedulerE0ELNS_15PipelineVersionE0ES6_S7_EELb1EEEvNT_8ArgumentE
	.globl	_ZN2ck27kernel_gemm_xdl_cshuffle_v1INS_43GridwiseGemm_k0mk1_k0nk1_mn_xdl_cshuffle_v1INS_13tensor_layout4gemm8RowMajorENS3_11ColumnMajorES4_NS_9f8_fnuz_tENS_10bf8_fnuz_tEffDF16_NS_16tensor_operation12element_wise11PassThroughESA_SA_LNS8_6device18GemmSpecializationE0ELNS_25InMemoryDataOperationEnumE0ELi1ELi256ELi256ELi128ELi64ELi16ELi16ELi16ELi16ELi8ELi2ENS_8SequenceIJLi4ELi64ELi1EEEENSE_IJLi1ELi0ELi2EEEESG_Li2ELi16ELi16ELb0ELi1ESF_SG_SG_Li2ELi8ELi8ELb0ELi1ELi1ELi1ENSE_IJLi1ELi32ELi1ELi8EEEELi4ELNS_13LoopSchedulerE0ELNS_15PipelineVersionE0ES6_S7_EELb1EEEvNT_8ArgumentE
	.p2align	8
	.type	_ZN2ck27kernel_gemm_xdl_cshuffle_v1INS_43GridwiseGemm_k0mk1_k0nk1_mn_xdl_cshuffle_v1INS_13tensor_layout4gemm8RowMajorENS3_11ColumnMajorES4_NS_9f8_fnuz_tENS_10bf8_fnuz_tEffDF16_NS_16tensor_operation12element_wise11PassThroughESA_SA_LNS8_6device18GemmSpecializationE0ELNS_25InMemoryDataOperationEnumE0ELi1ELi256ELi256ELi128ELi64ELi16ELi16ELi16ELi16ELi8ELi2ENS_8SequenceIJLi4ELi64ELi1EEEENSE_IJLi1ELi0ELi2EEEESG_Li2ELi16ELi16ELb0ELi1ESF_SG_SG_Li2ELi8ELi8ELb0ELi1ELi1ELi1ENSE_IJLi1ELi32ELi1ELi8EEEELi4ELNS_13LoopSchedulerE0ELNS_15PipelineVersionE0ES6_S7_EELb1EEEvNT_8ArgumentE,@function
_ZN2ck27kernel_gemm_xdl_cshuffle_v1INS_43GridwiseGemm_k0mk1_k0nk1_mn_xdl_cshuffle_v1INS_13tensor_layout4gemm8RowMajorENS3_11ColumnMajorES4_NS_9f8_fnuz_tENS_10bf8_fnuz_tEffDF16_NS_16tensor_operation12element_wise11PassThroughESA_SA_LNS8_6device18GemmSpecializationE0ELNS_25InMemoryDataOperationEnumE0ELi1ELi256ELi256ELi128ELi64ELi16ELi16ELi16ELi16ELi8ELi2ENS_8SequenceIJLi4ELi64ELi1EEEENSE_IJLi1ELi0ELi2EEEESG_Li2ELi16ELi16ELb0ELi1ESF_SG_SG_Li2ELi8ELi8ELb0ELi1ELi1ELi1ENSE_IJLi1ELi32ELi1ELi8EEEELi4ELNS_13LoopSchedulerE0ELNS_15PipelineVersionE0ES6_S7_EELb1EEEvNT_8ArgumentE: ; @_ZN2ck27kernel_gemm_xdl_cshuffle_v1INS_43GridwiseGemm_k0mk1_k0nk1_mn_xdl_cshuffle_v1INS_13tensor_layout4gemm8RowMajorENS3_11ColumnMajorES4_NS_9f8_fnuz_tENS_10bf8_fnuz_tEffDF16_NS_16tensor_operation12element_wise11PassThroughESA_SA_LNS8_6device18GemmSpecializationE0ELNS_25InMemoryDataOperationEnumE0ELi1ELi256ELi256ELi128ELi64ELi16ELi16ELi16ELi16ELi8ELi2ENS_8SequenceIJLi4ELi64ELi1EEEENSE_IJLi1ELi0ELi2EEEESG_Li2ELi16ELi16ELb0ELi1ESF_SG_SG_Li2ELi8ELi8ELb0ELi1ELi1ELi1ENSE_IJLi1ELi32ELi1ELi8EEEELi4ELNS_13LoopSchedulerE0ELNS_15PipelineVersionE0ES6_S7_EELb1EEEvNT_8ArgumentE
; %bb.0:
	s_clause 0x1
	s_load_b128 s[4:7], s[0:1], 0x10
	s_load_b64 s[20:21], s[0:1], 0x20
	s_add_u32 s2, 0, 0
	v_and_b32_e32 v3, 3, v0
	v_lshrrev_b32_e32 v4, 1, v0
	s_delay_alu instid0(VALU_DEP_2)
	v_lshlrev_b32_e32 v6, 4, v3
	s_waitcnt lgkmcnt(0)
	s_addc_u32 s3, s4, -1
	s_add_u32 s8, 0, 0
	s_addc_u32 s8, s5, -1
	s_addk_i32 s4, 0xff
	s_add_i32 s9, s5, 0x7f
	s_ashr_i32 s10, s4, 31
	s_ashr_i32 s11, s9, 31
	s_lshr_b32 s10, s10, 24
	s_lshr_b32 s11, s11, 25
	s_add_i32 s4, s4, s10
	s_add_i32 s9, s9, s11
	s_ashr_i32 s4, s4, 8
	s_ashr_i32 s9, s9, 7
	s_abs_i32 s13, s15
	s_mul_i32 s10, s9, s4
	s_mul_i32 s8, s8, s20
	s_abs_i32 s10, s10
	s_delay_alu instid0(SALU_CYCLE_1) | instskip(SKIP_1) | instid1(VALU_DEP_1)
	v_cvt_f32_u32_e32 v1, s10
	s_sub_i32 s12, 0, s10
	v_rcp_iflag_f32_e32 v1, v1
	s_waitcnt_depctr 0xfff
	v_mul_f32_e32 v1, 0x4f7ffffe, v1
	s_delay_alu instid0(VALU_DEP_1) | instskip(NEXT) | instid1(VALU_DEP_1)
	v_cvt_u32_f32_e32 v1, v1
	v_readfirstlane_b32 s11, v1
	s_delay_alu instid0(VALU_DEP_1) | instskip(NEXT) | instid1(SALU_CYCLE_1)
	s_mul_i32 s12, s12, s11
	s_mul_hi_u32 s12, s11, s12
	s_delay_alu instid0(SALU_CYCLE_1) | instskip(SKIP_2) | instid1(SALU_CYCLE_1)
	s_add_i32 s11, s11, s12
	s_ashr_i32 s12, s15, 31
	s_mul_hi_u32 s11, s13, s11
	s_mul_i32 s11, s11, s10
	s_delay_alu instid0(SALU_CYCLE_1) | instskip(NEXT) | instid1(SALU_CYCLE_1)
	s_sub_i32 s11, s13, s11
	s_sub_i32 s13, s11, s10
	s_cmp_ge_u32 s11, s10
	s_cselect_b32 s11, s13, s11
	s_delay_alu instid0(SALU_CYCLE_1)
	s_sub_i32 s13, s11, s10
	s_cmp_ge_u32 s11, s10
	s_cselect_b32 s10, s13, s11
	s_abs_i32 s11, s9
	s_xor_b32 s10, s10, s12
	v_cvt_f32_u32_e32 v1, s11
	s_sub_i32 s14, 0, s11
	s_sub_i32 s10, s10, s12
	s_delay_alu instid0(VALU_DEP_1) | instskip(SKIP_2) | instid1(VALU_DEP_1)
	v_rcp_iflag_f32_e32 v1, v1
	s_waitcnt_depctr 0xfff
	v_mul_f32_e32 v1, 0x4f7ffffe, v1
	v_cvt_u32_f32_e32 v1, v1
	s_delay_alu instid0(VALU_DEP_1) | instskip(NEXT) | instid1(VALU_DEP_1)
	v_readfirstlane_b32 s13, v1
	s_mul_i32 s14, s14, s13
	s_delay_alu instid0(SALU_CYCLE_1) | instskip(SKIP_2) | instid1(SALU_CYCLE_1)
	s_mul_hi_u32 s12, s13, s14
	s_abs_i32 s14, s10
	s_add_i32 s13, s13, s12
	s_mul_hi_u32 s12, s14, s13
	s_xor_b32 s13, s10, s9
	s_mul_i32 s15, s12, s11
	s_ashr_i32 s13, s13, 31
	s_sub_i32 s14, s14, s15
	s_add_i32 s15, s12, 1
	s_sub_i32 s16, s14, s11
	s_cmp_ge_u32 s14, s11
	s_cselect_b32 s12, s15, s12
	s_cselect_b32 s14, s16, s14
	s_add_i32 s15, s12, 1
	s_cmp_ge_u32 s14, s11
	s_load_b128 s[16:19], s[0:1], 0x48
	s_cselect_b32 s11, s15, s12
	s_lshr_b32 s12, s4, 29
	s_xor_b32 s11, s11, s13
	s_add_i32 s12, s4, s12
	s_sub_i32 s13, s11, s13
	s_and_b32 s12, s12, -8
	s_mul_i32 s14, s13, s9
	s_sub_i32 s4, s4, s12
	s_cmp_ge_i32 s13, s12
	s_cselect_b32 s12, s4, 8
	s_ashr_i32 s11, s13, 31
	s_abs_i32 s4, s12
	s_lshr_b32 s11, s11, 29
	v_cvt_f32_u32_e32 v1, s4
	s_add_i32 s11, s13, s11
	s_sub_i32 s10, s10, s14
	s_and_b32 s11, s11, -8
	s_delay_alu instid0(VALU_DEP_1) | instskip(SKIP_3) | instid1(SALU_CYCLE_1)
	v_rcp_iflag_f32_e32 v1, v1
	s_sub_i32 s14, s13, s11
	s_sub_i32 s11, 0, s4
	s_mul_i32 s9, s14, s9
	s_add_i32 s9, s9, s10
	s_waitcnt_depctr 0xfff
	v_mul_f32_e32 v1, 0x4f7ffffe, v1
	s_delay_alu instid0(VALU_DEP_1) | instskip(NEXT) | instid1(VALU_DEP_1)
	v_cvt_u32_f32_e32 v1, v1
	v_readfirstlane_b32 s15, v1
	v_and_b32_e32 v1, 0x7e, v4
	s_delay_alu instid0(VALU_DEP_2) | instskip(NEXT) | instid1(SALU_CYCLE_1)
	s_mul_i32 s11, s11, s15
	s_mul_hi_u32 s10, s15, s11
	s_abs_i32 s11, s9
	s_add_i32 s15, s15, s10
	s_delay_alu instid0(SALU_CYCLE_1)
	s_mul_hi_u32 s10, s11, s15
	s_xor_b32 s15, s9, s12
	s_mul_i32 s22, s10, s4
	s_ashr_i32 s15, s15, 31
	s_sub_i32 s11, s11, s22
	s_add_i32 s22, s10, 1
	s_sub_i32 s23, s11, s4
	s_cmp_ge_u32 s11, s4
	s_cselect_b32 s10, s22, s10
	s_cselect_b32 s11, s23, s11
	s_add_i32 s22, s10, 1
	s_cmp_ge_u32 s11, s4
	s_mov_b32 s11, 0x31004000
	s_cselect_b32 s4, s22, s10
	s_delay_alu instid0(SALU_CYCLE_1) | instskip(NEXT) | instid1(SALU_CYCLE_1)
	s_xor_b32 s4, s4, s15
	s_sub_i32 s10, s4, s15
	s_mov_b32 s15, s11
	s_lshl_b32 s4, s10, 7
	s_mul_i32 s10, s10, s12
	v_add_nc_u32_e32 v2, s4, v1
	s_sub_i32 s9, s9, s10
	s_waitcnt lgkmcnt(0)
	s_mov_b32 s12, s18
	s_add_i32 s9, s9, s13
	s_mov_b32 s13, s19
	v_mul_lo_u32 v5, v2, s20
	v_and_b32_e32 v2, 0xfc, v0
	s_sub_i32 s22, s9, s14
	s_add_i32 s14, s6, s8
	s_lshl_b32 s9, s22, 8
	s_mul_i32 s10, s3, s7
	v_add_nc_u32_e32 v10, s9, v2
	s_mov_b32 s8, s16
	v_add_nc_u32_e32 v7, v5, v6
	s_mov_b32 s9, s17
	s_add_i32 s10, s6, s10
	v_mul_lo_u32 v35, v10, s7
	v_lshlrev_b32_e32 v2, 4, v2
	buffer_load_b128 v[11:14], v7, s[12:15], 0 offen
	v_add_nc_u32_e32 v7, s20, v7
	v_add_nc_u32_e32 v37, 2, v10
	v_mad_u32_u24 v36, 0x1010, v3, v2
	v_add_nc_u32_e32 v8, v35, v6
	s_delay_alu instid0(VALU_DEP_4) | instskip(SKIP_4) | instid1(VALU_DEP_1)
	v_add_nc_u32_e32 v9, 8, v7
	s_clause 0x1
	buffer_load_b64 v[15:16], v7, s[12:15], 0 offen
	buffer_load_b64 v[17:18], v9, s[12:15], 0 offen
	v_add_nc_u32_e32 v7, s7, v8
	v_add_nc_u32_e32 v9, s7, v7
	s_delay_alu instid0(VALU_DEP_1)
	v_add_nc_u32_e32 v31, s7, v9
	s_clause 0x3
	buffer_load_b128 v[19:22], v8, s[8:11], 0 offen
	buffer_load_b128 v[23:26], v7, s[8:11], 0 offen
	;; [unrolled: 1-line block ×4, first 2 shown]
	s_clause 0x1
	s_load_b32 s6, s[0:1], 0x34
	s_load_b64 s[0:1], s[0:1], 0x58
	v_mul_u32_u24_e32 v7, 0x810, v3
	v_mul_u32_u24_e32 v8, 0x1010, v3
	v_add_nc_u32_e32 v3, 3, v10
	v_add_nc_u32_e32 v10, 64, v35
	;; [unrolled: 1-line block ×3, first 2 shown]
	v_lshl_add_u32 v7, v1, 4, v7
	v_add_nc_u32_e32 v8, v8, v2
	v_mad_u64_u32 v[1:2], null, s7, v3, 64
	v_mad_u64_u32 v[2:3], null, s7, v37, 64
	v_add_nc_u32_e32 v3, s7, v10
	s_waitcnt vmcnt(3)
	ds_store_b128 v36, v[19:22]
	s_waitcnt vmcnt(2)
	ds_store_b128 v36, v[23:26] offset:16
	v_and_b32_e32 v35, 0xff000000, v12
	v_and_b32_e32 v37, 0xff0000, v12
	;; [unrolled: 1-line block ×6, first 2 shown]
	v_or_b32_e32 v35, v37, v35
	v_and_b32_e32 v43, 0xff000000, v18
	v_or_b32_e32 v37, v40, v39
	v_and_b32_e32 v39, 0xff000000, v16
	v_and_b32_e32 v40, 0xff0000, v16
	;; [unrolled: 1-line block ×3, first 2 shown]
	s_waitcnt lgkmcnt(0)
	s_ashr_i32 s16, s6, 31
	v_and_b32_e32 v41, 0xff00, v14
	s_lshr_b32 s16, s16, 30
	v_and_b32_e32 v14, 0xff, v14
	v_and_b32_e32 v42, 0xff00, v16
	;; [unrolled: 1-line block ×3, first 2 shown]
	v_or3_b32 v12, v35, v38, v12
	v_and_b32_e32 v35, 0xff00, v18
	v_and_b32_e32 v18, 0xff, v18
	v_or_b32_e32 v38, v40, v39
	v_or_b32_e32 v39, v43, v44
	s_add_i32 s6, s6, s16
	v_or3_b32 v14, v37, v41, v14
	s_ashr_i32 s6, s6, 2
	v_or3_b32 v16, v38, v42, v16
	s_add_i32 s6, s6, -1
	v_or3_b32 v18, v39, v35, v18
	s_max_i32 s6, s6, 1
	s_waitcnt vmcnt(1)
	ds_store_b128 v36, v[27:30] offset:32
	s_waitcnt vmcnt(0)
	ds_store_b128 v36, v[31:34] offset:48
	ds_store_b128 v7, v[11:14] offset:16432
	;; [unrolled: 1-line block ×3, first 2 shown]
.LBB3_1:                                ; =>This Inner Loop Header: Depth=1
	v_add_nc_u32_e32 v11, v6, v10
	v_add_nc_u32_e32 v27, v6, v5
	;; [unrolled: 1-line block ×6, first 2 shown]
	s_clause 0x3
	buffer_load_b128 v[11:14], v11, s[8:11], 0 offen
	buffer_load_b128 v[15:18], v15, s[8:11], 0 offen
	buffer_load_b128 v[19:22], v19, s[8:11], 0 offen
	buffer_load_b128 v[23:26], v23, s[8:11], 0 offen
	s_waitcnt vmcnt(0) lgkmcnt(0)
	s_barrier
	s_clause 0x1
	buffer_load_b128 v[27:30], v27, s[12:15], 0 offen offset:64
	buffer_load_b128 v[31:34], v31, s[12:15], 0 offen offset:64
	v_add_nc_u32_e32 v9, 64, v9
	v_add_nc_u32_e32 v5, 64, v5
	;; [unrolled: 1-line block ×6, first 2 shown]
	s_add_i32 s6, s6, -1
	s_waitcnt lgkmcnt(0)
	s_cmp_lg_u32 s6, 0
	s_waitcnt vmcnt(0)
	s_barrier
	ds_store_b128 v8, v[11:14]
	v_and_b32_e32 v35, 0xff000000, v28
	v_and_b32_e32 v36, 0xff0000, v28
	;; [unrolled: 1-line block ×12, first 2 shown]
	v_or_b32_e32 v35, v36, v35
	v_or_b32_e32 v36, v39, v38
	v_and_b32_e32 v43, 0xff00, v34
	v_and_b32_e32 v34, 0xff, v34
	v_and_b32_e32 v46, 0xff00, v32
	v_and_b32_e32 v32, 0xff, v32
	v_or_b32_e32 v38, v42, v41
	v_or_b32_e32 v39, v45, v44
	v_or3_b32 v28, v35, v37, v28
	v_or3_b32 v30, v36, v40, v30
	s_delay_alu instid0(VALU_DEP_4) | instskip(NEXT) | instid1(VALU_DEP_4)
	v_or3_b32 v34, v38, v43, v34
	v_or3_b32 v32, v39, v46, v32
	ds_store_b128 v8, v[15:18] offset:16
	ds_store_b128 v8, v[19:22] offset:32
	;; [unrolled: 1-line block ×5, first 2 shown]
	s_cbranch_scc1 .LBB3_1
; %bb.2:
	v_lshlrev_b32_e32 v1, 3, v0
	v_lshlrev_b32_e32 v2, 5, v0
	v_and_b32_e32 v3, 15, v0
	v_lshrrev_b32_e32 v12, 3, v0
	s_waitcnt lgkmcnt(0)
	v_and_b32_e32 v5, 0x400, v1
	v_and_b32_e32 v11, 56, v1
	v_dual_mov_b32 v1, 0 :: v_dual_and_b32 v2, 0x200, v2
	v_and_or_b32 v3, v4, 48, v3
	s_barrier
	s_delay_alu instid0(VALU_DEP_3)
	v_lshlrev_b32_e32 v0, 2, v11
	s_waitcnt lgkmcnt(0)
	s_barrier
	v_or3_b32 v2, v3, v2, v5
	v_lshl_or_b32 v14, s22, 8, v12
	v_lshl_or_b32 v0, v12, 8, v0
	v_or_b32_e32 v11, s4, v11
	s_mul_i32 s3, s3, s21
	v_lshlrev_b32_e32 v2, 2, v2
	ds_store_2addr_stride64_b32 v2, v1, v1 offset1:1
	ds_store_2addr_stride64_b32 v2, v1, v1 offset0:2 offset1:3
	ds_store_2addr_stride64_b32 v2, v1, v1 offset0:4 offset1:5
	;; [unrolled: 1-line block ×3, first 2 shown]
	s_waitcnt lgkmcnt(0)
	s_barrier
	ds_load_b128 v[3:6], v0
	ds_load_b128 v[7:10], v0 offset:16
	v_mad_u64_u32 v[12:13], null, v14, s21, v[11:12]
	s_mul_hi_u32 s2, s2, s21
	s_lshl_b32 s4, s21, 5
	s_add_i32 s2, s2, s3
	s_mov_b32 s3, 0x31004000
	s_add_i32 s2, s5, s2
	s_delay_alu instid0(VALU_DEP_1)
	v_lshlrev_b32_e32 v13, 1, v12
	s_lshl_b32 s2, s2, 1
	s_waitcnt lgkmcnt(1)
	v_cvt_f16_f32_e32 v3, v3
	v_cvt_f16_f32_e32 v11, v4
	;; [unrolled: 1-line block ×4, first 2 shown]
	s_waitcnt lgkmcnt(0)
	v_cvt_f16_f32_e32 v7, v7
	v_cvt_f16_f32_e32 v6, v9
	;; [unrolled: 1-line block ×4, first 2 shown]
	v_pack_b32_f16 v4, v4, v5
	v_pack_b32_f16 v3, v3, v11
	v_add_nc_u32_e32 v11, 64, v12
	v_pack_b32_f16 v6, v6, v9
	v_pack_b32_f16 v5, v7, v8
	buffer_store_b128 v[3:6], v13, s[0:3], 0 offen
	s_waitcnt lgkmcnt(0)
	s_waitcnt_vscnt null, 0x0
	s_barrier
	ds_store_2addr_stride64_b32 v2, v1, v1 offset1:1
	ds_store_2addr_stride64_b32 v2, v1, v1 offset0:2 offset1:3
	ds_store_2addr_stride64_b32 v2, v1, v1 offset0:4 offset1:5
	;; [unrolled: 1-line block ×3, first 2 shown]
	s_waitcnt lgkmcnt(0)
	s_barrier
	ds_load_b128 v[3:6], v0
	ds_load_b128 v[7:10], v0 offset:16
	s_waitcnt lgkmcnt(1)
	v_cvt_f16_f32_e32 v3, v3
	v_cvt_f16_f32_e32 v14, v4
	;; [unrolled: 1-line block ×4, first 2 shown]
	s_waitcnt lgkmcnt(0)
	v_cvt_f16_f32_e32 v7, v7
	v_cvt_f16_f32_e32 v6, v9
	;; [unrolled: 1-line block ×4, first 2 shown]
	v_lshlrev_b32_e32 v10, 1, v11
	v_pack_b32_f16 v4, v4, v5
	v_pack_b32_f16 v3, v3, v14
	;; [unrolled: 1-line block ×4, first 2 shown]
	s_clause 0x1
	buffer_store_b64 v[3:4], v10, s[0:3], 0 offen
	buffer_store_b64 v[5:6], v13, s[0:3], 0 offen offset:136
	s_waitcnt lgkmcnt(0)
	s_waitcnt_vscnt null, 0x0
	s_barrier
	ds_store_2addr_stride64_b32 v2, v1, v1 offset1:1
	ds_store_2addr_stride64_b32 v2, v1, v1 offset0:2 offset1:3
	ds_store_2addr_stride64_b32 v2, v1, v1 offset0:4 offset1:5
	ds_store_2addr_stride64_b32 v2, v1, v1 offset0:6 offset1:7
	s_waitcnt lgkmcnt(0)
	s_barrier
	ds_load_b128 v[3:6], v0
	ds_load_b128 v[7:10], v0 offset:16
	s_waitcnt lgkmcnt(1)
	v_cvt_f16_f32_e32 v3, v3
	v_cvt_f16_f32_e32 v13, v4
	;; [unrolled: 1-line block ×4, first 2 shown]
	s_waitcnt lgkmcnt(0)
	v_cvt_f16_f32_e32 v7, v7
	v_cvt_f16_f32_e32 v6, v9
	;; [unrolled: 1-line block ×4, first 2 shown]
	v_add_lshl_u32 v10, v11, s4, 1
	v_pack_b32_f16 v4, v4, v5
	v_pack_b32_f16 v3, v3, v13
	;; [unrolled: 1-line block ×4, first 2 shown]
	v_add_nc_u32_e32 v11, s4, v12
	buffer_store_b128 v[3:6], v10, s[0:3], 0 offen
	s_waitcnt lgkmcnt(0)
	s_waitcnt_vscnt null, 0x0
	s_barrier
	ds_store_2addr_stride64_b32 v2, v1, v1 offset1:1
	ds_store_2addr_stride64_b32 v2, v1, v1 offset0:2 offset1:3
	ds_store_2addr_stride64_b32 v2, v1, v1 offset0:4 offset1:5
	;; [unrolled: 1-line block ×3, first 2 shown]
	s_waitcnt lgkmcnt(0)
	s_barrier
	ds_load_b128 v[3:6], v0
	ds_load_b128 v[7:10], v0 offset:16
	s_waitcnt lgkmcnt(1)
	v_cvt_f16_f32_e32 v3, v3
	v_cvt_f16_f32_e32 v12, v4
	;; [unrolled: 1-line block ×4, first 2 shown]
	s_waitcnt lgkmcnt(0)
	v_cvt_f16_f32_e32 v7, v7
	v_cvt_f16_f32_e32 v6, v9
	;; [unrolled: 1-line block ×4, first 2 shown]
	v_lshlrev_b32_e32 v10, 1, v11
	v_pack_b32_f16 v4, v4, v5
	v_pack_b32_f16 v3, v3, v12
	;; [unrolled: 1-line block ×4, first 2 shown]
	v_add_nc_u32_e32 v11, s4, v11
	buffer_store_b128 v[3:6], v10, s[0:3], 0 offen
	s_waitcnt lgkmcnt(0)
	s_waitcnt_vscnt null, 0x0
	s_barrier
	ds_store_2addr_stride64_b32 v2, v1, v1 offset1:1
	ds_store_2addr_stride64_b32 v2, v1, v1 offset0:2 offset1:3
	ds_store_2addr_stride64_b32 v2, v1, v1 offset0:4 offset1:5
	;; [unrolled: 1-line block ×3, first 2 shown]
	s_waitcnt lgkmcnt(0)
	s_barrier
	ds_load_b128 v[3:6], v0
	ds_load_b128 v[7:10], v0 offset:16
	v_lshlrev_b32_e32 v13, 1, v11
	s_waitcnt lgkmcnt(1)
	v_cvt_f16_f32_e32 v3, v3
	v_cvt_f16_f32_e32 v12, v4
	v_cvt_f16_f32_e32 v4, v5
	v_cvt_f16_f32_e32 v5, v6
	s_waitcnt lgkmcnt(0)
	v_cvt_f16_f32_e32 v7, v7
	v_cvt_f16_f32_e32 v6, v9
	;; [unrolled: 1-line block ×4, first 2 shown]
	v_pack_b32_f16 v4, v4, v5
	v_pack_b32_f16 v3, v3, v12
	v_add_nc_u32_e32 v12, 64, v11
	v_pack_b32_f16 v6, v6, v9
	v_pack_b32_f16 v5, v7, v8
	v_add_nc_u32_e32 v11, s4, v11
	buffer_store_b128 v[3:6], v13, s[0:3], 0 offen
	s_waitcnt lgkmcnt(0)
	s_waitcnt_vscnt null, 0x0
	s_barrier
	ds_store_2addr_stride64_b32 v2, v1, v1 offset1:1
	ds_store_2addr_stride64_b32 v2, v1, v1 offset0:2 offset1:3
	ds_store_2addr_stride64_b32 v2, v1, v1 offset0:4 offset1:5
	;; [unrolled: 1-line block ×3, first 2 shown]
	s_waitcnt lgkmcnt(0)
	s_barrier
	ds_load_b128 v[3:6], v0
	ds_load_b128 v[7:10], v0 offset:16
	s_waitcnt lgkmcnt(1)
	v_cvt_f16_f32_e32 v3, v3
	v_cvt_f16_f32_e32 v14, v4
	;; [unrolled: 1-line block ×4, first 2 shown]
	s_waitcnt lgkmcnt(0)
	v_cvt_f16_f32_e32 v7, v7
	v_cvt_f16_f32_e32 v6, v9
	;; [unrolled: 1-line block ×4, first 2 shown]
	v_lshlrev_b32_e32 v10, 1, v12
	v_pack_b32_f16 v4, v4, v5
	v_pack_b32_f16 v3, v3, v14
	;; [unrolled: 1-line block ×4, first 2 shown]
	s_clause 0x1
	buffer_store_b64 v[3:4], v10, s[0:3], 0 offen
	buffer_store_b64 v[5:6], v13, s[0:3], 0 offen offset:136
	s_waitcnt lgkmcnt(0)
	s_waitcnt_vscnt null, 0x0
	s_barrier
	ds_store_2addr_stride64_b32 v2, v1, v1 offset1:1
	ds_store_2addr_stride64_b32 v2, v1, v1 offset0:2 offset1:3
	ds_store_2addr_stride64_b32 v2, v1, v1 offset0:4 offset1:5
	;; [unrolled: 1-line block ×3, first 2 shown]
	s_waitcnt lgkmcnt(0)
	s_barrier
	ds_load_b128 v[3:6], v0
	ds_load_b128 v[7:10], v0 offset:16
	s_waitcnt lgkmcnt(1)
	v_cvt_f16_f32_e32 v3, v3
	v_cvt_f16_f32_e32 v13, v4
	;; [unrolled: 1-line block ×4, first 2 shown]
	s_waitcnt lgkmcnt(0)
	v_cvt_f16_f32_e32 v7, v7
	v_cvt_f16_f32_e32 v6, v9
	v_cvt_f16_f32_e32 v9, v10
	v_cvt_f16_f32_e32 v8, v8
	v_add_lshl_u32 v10, v12, s4, 1
	v_pack_b32_f16 v4, v4, v5
	v_pack_b32_f16 v3, v3, v13
	;; [unrolled: 1-line block ×4, first 2 shown]
	buffer_store_b128 v[3:6], v10, s[0:3], 0 offen
	s_waitcnt lgkmcnt(0)
	s_waitcnt_vscnt null, 0x0
	s_barrier
	ds_store_2addr_stride64_b32 v2, v1, v1 offset1:1
	ds_store_2addr_stride64_b32 v2, v1, v1 offset0:2 offset1:3
	ds_store_2addr_stride64_b32 v2, v1, v1 offset0:4 offset1:5
	;; [unrolled: 1-line block ×3, first 2 shown]
	s_waitcnt lgkmcnt(0)
	s_barrier
	ds_load_b128 v[3:6], v0
	ds_load_b128 v[7:10], v0 offset:16
	s_waitcnt lgkmcnt(1)
	v_cvt_f16_f32_e32 v3, v3
	v_cvt_f16_f32_e32 v12, v4
	;; [unrolled: 1-line block ×4, first 2 shown]
	s_waitcnt lgkmcnt(0)
	v_cvt_f16_f32_e32 v7, v7
	v_cvt_f16_f32_e32 v6, v9
	;; [unrolled: 1-line block ×4, first 2 shown]
	v_lshlrev_b32_e32 v10, 1, v11
	v_pack_b32_f16 v4, v4, v5
	v_pack_b32_f16 v3, v3, v12
	;; [unrolled: 1-line block ×4, first 2 shown]
	v_add_nc_u32_e32 v11, s4, v11
	buffer_store_b128 v[3:6], v10, s[0:3], 0 offen
	s_waitcnt lgkmcnt(0)
	s_waitcnt_vscnt null, 0x0
	s_barrier
	ds_store_2addr_stride64_b32 v2, v1, v1 offset1:1
	ds_store_2addr_stride64_b32 v2, v1, v1 offset0:2 offset1:3
	ds_store_2addr_stride64_b32 v2, v1, v1 offset0:4 offset1:5
	;; [unrolled: 1-line block ×3, first 2 shown]
	s_waitcnt lgkmcnt(0)
	s_barrier
	ds_load_b128 v[3:6], v0
	ds_load_b128 v[7:10], v0 offset:16
	v_lshlrev_b32_e32 v13, 1, v11
	s_waitcnt lgkmcnt(1)
	v_cvt_f16_f32_e32 v3, v3
	v_cvt_f16_f32_e32 v12, v4
	;; [unrolled: 1-line block ×4, first 2 shown]
	s_waitcnt lgkmcnt(0)
	v_cvt_f16_f32_e32 v7, v7
	v_cvt_f16_f32_e32 v6, v9
	;; [unrolled: 1-line block ×4, first 2 shown]
	v_pack_b32_f16 v4, v4, v5
	v_pack_b32_f16 v3, v3, v12
	v_add_nc_u32_e32 v12, 64, v11
	v_pack_b32_f16 v6, v6, v9
	v_pack_b32_f16 v5, v7, v8
	v_add_nc_u32_e32 v11, s4, v11
	buffer_store_b128 v[3:6], v13, s[0:3], 0 offen
	s_waitcnt lgkmcnt(0)
	s_waitcnt_vscnt null, 0x0
	s_barrier
	ds_store_2addr_stride64_b32 v2, v1, v1 offset1:1
	ds_store_2addr_stride64_b32 v2, v1, v1 offset0:2 offset1:3
	ds_store_2addr_stride64_b32 v2, v1, v1 offset0:4 offset1:5
	ds_store_2addr_stride64_b32 v2, v1, v1 offset0:6 offset1:7
	s_waitcnt lgkmcnt(0)
	s_barrier
	ds_load_b128 v[3:6], v0
	ds_load_b128 v[7:10], v0 offset:16
	s_waitcnt lgkmcnt(1)
	v_cvt_f16_f32_e32 v3, v3
	v_cvt_f16_f32_e32 v14, v4
	;; [unrolled: 1-line block ×4, first 2 shown]
	s_waitcnt lgkmcnt(0)
	v_cvt_f16_f32_e32 v7, v7
	v_cvt_f16_f32_e32 v6, v9
	;; [unrolled: 1-line block ×4, first 2 shown]
	v_lshlrev_b32_e32 v10, 1, v12
	v_pack_b32_f16 v4, v4, v5
	v_pack_b32_f16 v3, v3, v14
	;; [unrolled: 1-line block ×4, first 2 shown]
	s_clause 0x1
	buffer_store_b64 v[3:4], v10, s[0:3], 0 offen
	buffer_store_b64 v[5:6], v13, s[0:3], 0 offen offset:136
	s_waitcnt lgkmcnt(0)
	s_waitcnt_vscnt null, 0x0
	s_barrier
	ds_store_2addr_stride64_b32 v2, v1, v1 offset1:1
	ds_store_2addr_stride64_b32 v2, v1, v1 offset0:2 offset1:3
	ds_store_2addr_stride64_b32 v2, v1, v1 offset0:4 offset1:5
	;; [unrolled: 1-line block ×3, first 2 shown]
	s_waitcnt lgkmcnt(0)
	s_barrier
	ds_load_b128 v[3:6], v0
	ds_load_b128 v[7:10], v0 offset:16
	s_waitcnt lgkmcnt(1)
	v_cvt_f16_f32_e32 v3, v3
	v_cvt_f16_f32_e32 v13, v4
	;; [unrolled: 1-line block ×4, first 2 shown]
	s_waitcnt lgkmcnt(0)
	v_cvt_f16_f32_e32 v7, v7
	v_cvt_f16_f32_e32 v6, v9
	;; [unrolled: 1-line block ×4, first 2 shown]
	v_add_lshl_u32 v10, v12, s4, 1
	v_pack_b32_f16 v4, v4, v5
	v_pack_b32_f16 v3, v3, v13
	;; [unrolled: 1-line block ×4, first 2 shown]
	buffer_store_b128 v[3:6], v10, s[0:3], 0 offen
	s_waitcnt lgkmcnt(0)
	s_waitcnt_vscnt null, 0x0
	s_barrier
	ds_store_2addr_stride64_b32 v2, v1, v1 offset1:1
	ds_store_2addr_stride64_b32 v2, v1, v1 offset0:2 offset1:3
	ds_store_2addr_stride64_b32 v2, v1, v1 offset0:4 offset1:5
	;; [unrolled: 1-line block ×3, first 2 shown]
	s_waitcnt lgkmcnt(0)
	s_barrier
	ds_load_b128 v[3:6], v0
	ds_load_b128 v[7:10], v0 offset:16
	s_waitcnt lgkmcnt(1)
	v_cvt_f16_f32_e32 v3, v3
	v_cvt_f16_f32_e32 v12, v4
	;; [unrolled: 1-line block ×4, first 2 shown]
	s_waitcnt lgkmcnt(0)
	v_cvt_f16_f32_e32 v7, v7
	v_cvt_f16_f32_e32 v6, v9
	;; [unrolled: 1-line block ×4, first 2 shown]
	v_lshlrev_b32_e32 v10, 1, v11
	v_pack_b32_f16 v4, v4, v5
	v_pack_b32_f16 v3, v3, v12
	;; [unrolled: 1-line block ×4, first 2 shown]
	v_add_nc_u32_e32 v11, s4, v11
	buffer_store_b128 v[3:6], v10, s[0:3], 0 offen
	s_waitcnt lgkmcnt(0)
	s_waitcnt_vscnt null, 0x0
	s_barrier
	ds_store_2addr_stride64_b32 v2, v1, v1 offset1:1
	ds_store_2addr_stride64_b32 v2, v1, v1 offset0:2 offset1:3
	ds_store_2addr_stride64_b32 v2, v1, v1 offset0:4 offset1:5
	;; [unrolled: 1-line block ×3, first 2 shown]
	s_waitcnt lgkmcnt(0)
	s_barrier
	ds_load_b128 v[3:6], v0
	ds_load_b128 v[7:10], v0 offset:16
	v_lshlrev_b32_e32 v13, 1, v11
	s_waitcnt lgkmcnt(1)
	v_cvt_f16_f32_e32 v3, v3
	v_cvt_f16_f32_e32 v12, v4
	;; [unrolled: 1-line block ×4, first 2 shown]
	s_waitcnt lgkmcnt(0)
	v_cvt_f16_f32_e32 v7, v7
	v_cvt_f16_f32_e32 v6, v9
	;; [unrolled: 1-line block ×4, first 2 shown]
	v_pack_b32_f16 v4, v4, v5
	v_pack_b32_f16 v3, v3, v12
	v_add_nc_u32_e32 v12, 64, v11
	v_pack_b32_f16 v6, v6, v9
	v_pack_b32_f16 v5, v7, v8
	buffer_store_b128 v[3:6], v13, s[0:3], 0 offen
	s_waitcnt lgkmcnt(0)
	s_waitcnt_vscnt null, 0x0
	s_barrier
	ds_store_2addr_stride64_b32 v2, v1, v1 offset1:1
	ds_store_2addr_stride64_b32 v2, v1, v1 offset0:2 offset1:3
	ds_store_2addr_stride64_b32 v2, v1, v1 offset0:4 offset1:5
	;; [unrolled: 1-line block ×3, first 2 shown]
	s_waitcnt lgkmcnt(0)
	s_barrier
	ds_load_b128 v[3:6], v0
	ds_load_b128 v[7:10], v0 offset:16
	s_waitcnt lgkmcnt(1)
	v_cvt_f16_f32_e32 v3, v3
	v_cvt_f16_f32_e32 v14, v4
	;; [unrolled: 1-line block ×4, first 2 shown]
	s_waitcnt lgkmcnt(0)
	v_cvt_f16_f32_e32 v7, v7
	v_cvt_f16_f32_e32 v6, v9
	;; [unrolled: 1-line block ×4, first 2 shown]
	v_lshlrev_b32_e32 v10, 1, v12
	v_pack_b32_f16 v4, v4, v5
	v_pack_b32_f16 v3, v3, v14
	;; [unrolled: 1-line block ×4, first 2 shown]
	s_clause 0x1
	buffer_store_b64 v[3:4], v10, s[0:3], 0 offen
	buffer_store_b64 v[5:6], v13, s[0:3], 0 offen offset:136
	s_waitcnt lgkmcnt(0)
	s_waitcnt_vscnt null, 0x0
	s_barrier
	ds_store_2addr_stride64_b32 v2, v1, v1 offset1:1
	ds_store_2addr_stride64_b32 v2, v1, v1 offset0:2 offset1:3
	ds_store_2addr_stride64_b32 v2, v1, v1 offset0:4 offset1:5
	;; [unrolled: 1-line block ×3, first 2 shown]
	s_waitcnt lgkmcnt(0)
	s_barrier
	ds_load_b128 v[3:6], v0
	ds_load_b128 v[7:10], v0 offset:16
	s_waitcnt lgkmcnt(1)
	v_cvt_f16_f32_e32 v3, v3
	v_cvt_f16_f32_e32 v13, v4
	;; [unrolled: 1-line block ×4, first 2 shown]
	s_waitcnt lgkmcnt(0)
	v_cvt_f16_f32_e32 v7, v7
	v_cvt_f16_f32_e32 v6, v9
	;; [unrolled: 1-line block ×4, first 2 shown]
	v_add_lshl_u32 v10, v12, s4, 1
	v_pack_b32_f16 v4, v4, v5
	v_pack_b32_f16 v3, v3, v13
	;; [unrolled: 1-line block ×4, first 2 shown]
	buffer_store_b128 v[3:6], v10, s[0:3], 0 offen
	s_waitcnt lgkmcnt(0)
	s_waitcnt_vscnt null, 0x0
	s_barrier
	ds_store_2addr_stride64_b32 v2, v1, v1 offset1:1
	ds_store_2addr_stride64_b32 v2, v1, v1 offset0:2 offset1:3
	ds_store_2addr_stride64_b32 v2, v1, v1 offset0:4 offset1:5
	;; [unrolled: 1-line block ×3, first 2 shown]
	s_waitcnt lgkmcnt(0)
	s_barrier
	ds_load_b128 v[1:4], v0
	ds_load_b128 v[5:8], v0 offset:16
	s_waitcnt lgkmcnt(1)
	v_cvt_f16_f32_e32 v0, v1
	v_cvt_f16_f32_e32 v2, v2
	;; [unrolled: 1-line block ×4, first 2 shown]
	s_waitcnt lgkmcnt(0)
	v_cvt_f16_f32_e32 v4, v5
	v_cvt_f16_f32_e32 v5, v7
	;; [unrolled: 1-line block ×4, first 2 shown]
	v_add_lshl_u32 v8, v11, s4, 1
	v_pack_b32_f16 v1, v1, v3
	v_pack_b32_f16 v0, v0, v2
	;; [unrolled: 1-line block ×4, first 2 shown]
	buffer_store_b128 v[0:3], v8, s[0:3], 0 offen
	s_nop 0
	s_sendmsg sendmsg(MSG_DEALLOC_VGPRS)
	s_endpgm
	.section	.rodata,"a",@progbits
	.p2align	6, 0x0
	.amdhsa_kernel _ZN2ck27kernel_gemm_xdl_cshuffle_v1INS_43GridwiseGemm_k0mk1_k0nk1_mn_xdl_cshuffle_v1INS_13tensor_layout4gemm8RowMajorENS3_11ColumnMajorES4_NS_9f8_fnuz_tENS_10bf8_fnuz_tEffDF16_NS_16tensor_operation12element_wise11PassThroughESA_SA_LNS8_6device18GemmSpecializationE0ELNS_25InMemoryDataOperationEnumE0ELi1ELi256ELi256ELi128ELi64ELi16ELi16ELi16ELi16ELi8ELi2ENS_8SequenceIJLi4ELi64ELi1EEEENSE_IJLi1ELi0ELi2EEEESG_Li2ELi16ELi16ELb0ELi1ESF_SG_SG_Li2ELi8ELi8ELb0ELi1ELi1ELi1ENSE_IJLi1ELi32ELi1ELi8EEEELi4ELNS_13LoopSchedulerE0ELNS_15PipelineVersionE0ES6_S7_EELb1EEEvNT_8ArgumentE
		.amdhsa_group_segment_fixed_size 24672
		.amdhsa_private_segment_fixed_size 0
		.amdhsa_kernarg_size 96
		.amdhsa_user_sgpr_count 15
		.amdhsa_user_sgpr_dispatch_ptr 0
		.amdhsa_user_sgpr_queue_ptr 0
		.amdhsa_user_sgpr_kernarg_segment_ptr 1
		.amdhsa_user_sgpr_dispatch_id 0
		.amdhsa_user_sgpr_private_segment_size 0
		.amdhsa_wavefront_size32 1
		.amdhsa_uses_dynamic_stack 0
		.amdhsa_enable_private_segment 0
		.amdhsa_system_sgpr_workgroup_id_x 1
		.amdhsa_system_sgpr_workgroup_id_y 0
		.amdhsa_system_sgpr_workgroup_id_z 0
		.amdhsa_system_sgpr_workgroup_info 0
		.amdhsa_system_vgpr_workitem_id 0
		.amdhsa_next_free_vgpr 47
		.amdhsa_next_free_sgpr 24
		.amdhsa_reserve_vcc 0
		.amdhsa_float_round_mode_32 0
		.amdhsa_float_round_mode_16_64 0
		.amdhsa_float_denorm_mode_32 3
		.amdhsa_float_denorm_mode_16_64 3
		.amdhsa_dx10_clamp 1
		.amdhsa_ieee_mode 1
		.amdhsa_fp16_overflow 0
		.amdhsa_workgroup_processor_mode 1
		.amdhsa_memory_ordered 1
		.amdhsa_forward_progress 0
		.amdhsa_shared_vgpr_count 0
		.amdhsa_exception_fp_ieee_invalid_op 0
		.amdhsa_exception_fp_denorm_src 0
		.amdhsa_exception_fp_ieee_div_zero 0
		.amdhsa_exception_fp_ieee_overflow 0
		.amdhsa_exception_fp_ieee_underflow 0
		.amdhsa_exception_fp_ieee_inexact 0
		.amdhsa_exception_int_div_zero 0
	.end_amdhsa_kernel
	.section	.text._ZN2ck27kernel_gemm_xdl_cshuffle_v1INS_43GridwiseGemm_k0mk1_k0nk1_mn_xdl_cshuffle_v1INS_13tensor_layout4gemm8RowMajorENS3_11ColumnMajorES4_NS_9f8_fnuz_tENS_10bf8_fnuz_tEffDF16_NS_16tensor_operation12element_wise11PassThroughESA_SA_LNS8_6device18GemmSpecializationE0ELNS_25InMemoryDataOperationEnumE0ELi1ELi256ELi256ELi128ELi64ELi16ELi16ELi16ELi16ELi8ELi2ENS_8SequenceIJLi4ELi64ELi1EEEENSE_IJLi1ELi0ELi2EEEESG_Li2ELi16ELi16ELb0ELi1ESF_SG_SG_Li2ELi8ELi8ELb0ELi1ELi1ELi1ENSE_IJLi1ELi32ELi1ELi8EEEELi4ELNS_13LoopSchedulerE0ELNS_15PipelineVersionE0ES6_S7_EELb1EEEvNT_8ArgumentE,"axG",@progbits,_ZN2ck27kernel_gemm_xdl_cshuffle_v1INS_43GridwiseGemm_k0mk1_k0nk1_mn_xdl_cshuffle_v1INS_13tensor_layout4gemm8RowMajorENS3_11ColumnMajorES4_NS_9f8_fnuz_tENS_10bf8_fnuz_tEffDF16_NS_16tensor_operation12element_wise11PassThroughESA_SA_LNS8_6device18GemmSpecializationE0ELNS_25InMemoryDataOperationEnumE0ELi1ELi256ELi256ELi128ELi64ELi16ELi16ELi16ELi16ELi8ELi2ENS_8SequenceIJLi4ELi64ELi1EEEENSE_IJLi1ELi0ELi2EEEESG_Li2ELi16ELi16ELb0ELi1ESF_SG_SG_Li2ELi8ELi8ELb0ELi1ELi1ELi1ENSE_IJLi1ELi32ELi1ELi8EEEELi4ELNS_13LoopSchedulerE0ELNS_15PipelineVersionE0ES6_S7_EELb1EEEvNT_8ArgumentE,comdat
.Lfunc_end3:
	.size	_ZN2ck27kernel_gemm_xdl_cshuffle_v1INS_43GridwiseGemm_k0mk1_k0nk1_mn_xdl_cshuffle_v1INS_13tensor_layout4gemm8RowMajorENS3_11ColumnMajorES4_NS_9f8_fnuz_tENS_10bf8_fnuz_tEffDF16_NS_16tensor_operation12element_wise11PassThroughESA_SA_LNS8_6device18GemmSpecializationE0ELNS_25InMemoryDataOperationEnumE0ELi1ELi256ELi256ELi128ELi64ELi16ELi16ELi16ELi16ELi8ELi2ENS_8SequenceIJLi4ELi64ELi1EEEENSE_IJLi1ELi0ELi2EEEESG_Li2ELi16ELi16ELb0ELi1ESF_SG_SG_Li2ELi8ELi8ELb0ELi1ELi1ELi1ENSE_IJLi1ELi32ELi1ELi8EEEELi4ELNS_13LoopSchedulerE0ELNS_15PipelineVersionE0ES6_S7_EELb1EEEvNT_8ArgumentE, .Lfunc_end3-_ZN2ck27kernel_gemm_xdl_cshuffle_v1INS_43GridwiseGemm_k0mk1_k0nk1_mn_xdl_cshuffle_v1INS_13tensor_layout4gemm8RowMajorENS3_11ColumnMajorES4_NS_9f8_fnuz_tENS_10bf8_fnuz_tEffDF16_NS_16tensor_operation12element_wise11PassThroughESA_SA_LNS8_6device18GemmSpecializationE0ELNS_25InMemoryDataOperationEnumE0ELi1ELi256ELi256ELi128ELi64ELi16ELi16ELi16ELi16ELi8ELi2ENS_8SequenceIJLi4ELi64ELi1EEEENSE_IJLi1ELi0ELi2EEEESG_Li2ELi16ELi16ELb0ELi1ESF_SG_SG_Li2ELi8ELi8ELb0ELi1ELi1ELi1ENSE_IJLi1ELi32ELi1ELi8EEEELi4ELNS_13LoopSchedulerE0ELNS_15PipelineVersionE0ES6_S7_EELb1EEEvNT_8ArgumentE
                                        ; -- End function
	.section	.AMDGPU.csdata,"",@progbits
; Kernel info:
; codeLenInByte = 4184
; NumSgprs: 24
; NumVgprs: 47
; ScratchSize: 0
; MemoryBound: 0
; FloatMode: 240
; IeeeMode: 1
; LDSByteSize: 24672 bytes/workgroup (compile time only)
; SGPRBlocks: 2
; VGPRBlocks: 5
; NumSGPRsForWavesPerEU: 24
; NumVGPRsForWavesPerEU: 47
; Occupancy: 10
; WaveLimiterHint : 0
; COMPUTE_PGM_RSRC2:SCRATCH_EN: 0
; COMPUTE_PGM_RSRC2:USER_SGPR: 15
; COMPUTE_PGM_RSRC2:TRAP_HANDLER: 0
; COMPUTE_PGM_RSRC2:TGID_X_EN: 1
; COMPUTE_PGM_RSRC2:TGID_Y_EN: 0
; COMPUTE_PGM_RSRC2:TGID_Z_EN: 0
; COMPUTE_PGM_RSRC2:TIDIG_COMP_CNT: 0
	.section	.text._ZN2ck27kernel_gemm_xdl_cshuffle_v1INS_43GridwiseGemm_k0mk1_k0nk1_mn_xdl_cshuffle_v1INS_13tensor_layout4gemm8RowMajorENS3_11ColumnMajorES4_NS_9f8_fnuz_tENS_10bf8_fnuz_tEffDF16_NS_16tensor_operation12element_wise11PassThroughESA_SA_LNS8_6device18GemmSpecializationE0ELNS_25InMemoryDataOperationEnumE0ELi1ELi256ELi256ELi128ELi64ELi16ELi16ELi16ELi16ELi8ELi2ENS_8SequenceIJLi4ELi64ELi1EEEENSE_IJLi1ELi0ELi2EEEESG_Li2ELi16ELi16ELb0ELi1ESF_SG_SG_Li2ELi8ELi8ELb0ELi1ELi1ELi1ENSE_IJLi1ELi32ELi1ELi8EEEELi4ELNS_13LoopSchedulerE0ELNS_15PipelineVersionE0ES6_S7_EELb0EEEvNT_8ArgumentE,"axG",@progbits,_ZN2ck27kernel_gemm_xdl_cshuffle_v1INS_43GridwiseGemm_k0mk1_k0nk1_mn_xdl_cshuffle_v1INS_13tensor_layout4gemm8RowMajorENS3_11ColumnMajorES4_NS_9f8_fnuz_tENS_10bf8_fnuz_tEffDF16_NS_16tensor_operation12element_wise11PassThroughESA_SA_LNS8_6device18GemmSpecializationE0ELNS_25InMemoryDataOperationEnumE0ELi1ELi256ELi256ELi128ELi64ELi16ELi16ELi16ELi16ELi8ELi2ENS_8SequenceIJLi4ELi64ELi1EEEENSE_IJLi1ELi0ELi2EEEESG_Li2ELi16ELi16ELb0ELi1ESF_SG_SG_Li2ELi8ELi8ELb0ELi1ELi1ELi1ENSE_IJLi1ELi32ELi1ELi8EEEELi4ELNS_13LoopSchedulerE0ELNS_15PipelineVersionE0ES6_S7_EELb0EEEvNT_8ArgumentE,comdat
	.protected	_ZN2ck27kernel_gemm_xdl_cshuffle_v1INS_43GridwiseGemm_k0mk1_k0nk1_mn_xdl_cshuffle_v1INS_13tensor_layout4gemm8RowMajorENS3_11ColumnMajorES4_NS_9f8_fnuz_tENS_10bf8_fnuz_tEffDF16_NS_16tensor_operation12element_wise11PassThroughESA_SA_LNS8_6device18GemmSpecializationE0ELNS_25InMemoryDataOperationEnumE0ELi1ELi256ELi256ELi128ELi64ELi16ELi16ELi16ELi16ELi8ELi2ENS_8SequenceIJLi4ELi64ELi1EEEENSE_IJLi1ELi0ELi2EEEESG_Li2ELi16ELi16ELb0ELi1ESF_SG_SG_Li2ELi8ELi8ELb0ELi1ELi1ELi1ENSE_IJLi1ELi32ELi1ELi8EEEELi4ELNS_13LoopSchedulerE0ELNS_15PipelineVersionE0ES6_S7_EELb0EEEvNT_8ArgumentE ; -- Begin function _ZN2ck27kernel_gemm_xdl_cshuffle_v1INS_43GridwiseGemm_k0mk1_k0nk1_mn_xdl_cshuffle_v1INS_13tensor_layout4gemm8RowMajorENS3_11ColumnMajorES4_NS_9f8_fnuz_tENS_10bf8_fnuz_tEffDF16_NS_16tensor_operation12element_wise11PassThroughESA_SA_LNS8_6device18GemmSpecializationE0ELNS_25InMemoryDataOperationEnumE0ELi1ELi256ELi256ELi128ELi64ELi16ELi16ELi16ELi16ELi8ELi2ENS_8SequenceIJLi4ELi64ELi1EEEENSE_IJLi1ELi0ELi2EEEESG_Li2ELi16ELi16ELb0ELi1ESF_SG_SG_Li2ELi8ELi8ELb0ELi1ELi1ELi1ENSE_IJLi1ELi32ELi1ELi8EEEELi4ELNS_13LoopSchedulerE0ELNS_15PipelineVersionE0ES6_S7_EELb0EEEvNT_8ArgumentE
	.globl	_ZN2ck27kernel_gemm_xdl_cshuffle_v1INS_43GridwiseGemm_k0mk1_k0nk1_mn_xdl_cshuffle_v1INS_13tensor_layout4gemm8RowMajorENS3_11ColumnMajorES4_NS_9f8_fnuz_tENS_10bf8_fnuz_tEffDF16_NS_16tensor_operation12element_wise11PassThroughESA_SA_LNS8_6device18GemmSpecializationE0ELNS_25InMemoryDataOperationEnumE0ELi1ELi256ELi256ELi128ELi64ELi16ELi16ELi16ELi16ELi8ELi2ENS_8SequenceIJLi4ELi64ELi1EEEENSE_IJLi1ELi0ELi2EEEESG_Li2ELi16ELi16ELb0ELi1ESF_SG_SG_Li2ELi8ELi8ELb0ELi1ELi1ELi1ENSE_IJLi1ELi32ELi1ELi8EEEELi4ELNS_13LoopSchedulerE0ELNS_15PipelineVersionE0ES6_S7_EELb0EEEvNT_8ArgumentE
	.p2align	8
	.type	_ZN2ck27kernel_gemm_xdl_cshuffle_v1INS_43GridwiseGemm_k0mk1_k0nk1_mn_xdl_cshuffle_v1INS_13tensor_layout4gemm8RowMajorENS3_11ColumnMajorES4_NS_9f8_fnuz_tENS_10bf8_fnuz_tEffDF16_NS_16tensor_operation12element_wise11PassThroughESA_SA_LNS8_6device18GemmSpecializationE0ELNS_25InMemoryDataOperationEnumE0ELi1ELi256ELi256ELi128ELi64ELi16ELi16ELi16ELi16ELi8ELi2ENS_8SequenceIJLi4ELi64ELi1EEEENSE_IJLi1ELi0ELi2EEEESG_Li2ELi16ELi16ELb0ELi1ESF_SG_SG_Li2ELi8ELi8ELb0ELi1ELi1ELi1ENSE_IJLi1ELi32ELi1ELi8EEEELi4ELNS_13LoopSchedulerE0ELNS_15PipelineVersionE0ES6_S7_EELb0EEEvNT_8ArgumentE,@function
_ZN2ck27kernel_gemm_xdl_cshuffle_v1INS_43GridwiseGemm_k0mk1_k0nk1_mn_xdl_cshuffle_v1INS_13tensor_layout4gemm8RowMajorENS3_11ColumnMajorES4_NS_9f8_fnuz_tENS_10bf8_fnuz_tEffDF16_NS_16tensor_operation12element_wise11PassThroughESA_SA_LNS8_6device18GemmSpecializationE0ELNS_25InMemoryDataOperationEnumE0ELi1ELi256ELi256ELi128ELi64ELi16ELi16ELi16ELi16ELi8ELi2ENS_8SequenceIJLi4ELi64ELi1EEEENSE_IJLi1ELi0ELi2EEEESG_Li2ELi16ELi16ELb0ELi1ESF_SG_SG_Li2ELi8ELi8ELb0ELi1ELi1ELi1ENSE_IJLi1ELi32ELi1ELi8EEEELi4ELNS_13LoopSchedulerE0ELNS_15PipelineVersionE0ES6_S7_EELb0EEEvNT_8ArgumentE: ; @_ZN2ck27kernel_gemm_xdl_cshuffle_v1INS_43GridwiseGemm_k0mk1_k0nk1_mn_xdl_cshuffle_v1INS_13tensor_layout4gemm8RowMajorENS3_11ColumnMajorES4_NS_9f8_fnuz_tENS_10bf8_fnuz_tEffDF16_NS_16tensor_operation12element_wise11PassThroughESA_SA_LNS8_6device18GemmSpecializationE0ELNS_25InMemoryDataOperationEnumE0ELi1ELi256ELi256ELi128ELi64ELi16ELi16ELi16ELi16ELi8ELi2ENS_8SequenceIJLi4ELi64ELi1EEEENSE_IJLi1ELi0ELi2EEEESG_Li2ELi16ELi16ELb0ELi1ESF_SG_SG_Li2ELi8ELi8ELb0ELi1ELi1ELi1ENSE_IJLi1ELi32ELi1ELi8EEEELi4ELNS_13LoopSchedulerE0ELNS_15PipelineVersionE0ES6_S7_EELb0EEEvNT_8ArgumentE
; %bb.0:
	s_clause 0x1
	s_load_b128 s[4:7], s[0:1], 0x10
	s_load_b64 s[16:17], s[0:1], 0x20
	s_add_u32 s2, 0, 0
	v_and_b32_e32 v28, 0xfc, v0
	v_and_b32_e32 v27, 3, v0
	v_lshrrev_b32_e32 v29, 1, v0
	v_and_b32_e32 v31, 15, v0
	s_delay_alu instid0(VALU_DEP_2) | instskip(NEXT) | instid1(VALU_DEP_2)
	v_and_b32_e32 v30, 0x7e, v29
	v_and_or_b32 v29, v29, 48, v31
	v_mul_u32_u24_e32 v31, 0x810, v27
	s_waitcnt lgkmcnt(0)
	s_addc_u32 s2, s4, -1
	s_add_u32 s3, 0, 0
	s_addc_u32 s3, s5, -1
	s_addk_i32 s4, 0xff
	s_add_i32 s8, s5, 0x7f
	s_ashr_i32 s9, s4, 31
	s_ashr_i32 s10, s8, 31
	s_lshr_b32 s9, s9, 24
	s_lshr_b32 s10, s10, 25
	s_add_i32 s4, s4, s9
	s_add_i32 s8, s8, s10
	s_ashr_i32 s4, s4, 8
	s_ashr_i32 s8, s8, 7
	s_abs_i32 s12, s15
	s_mul_i32 s9, s8, s4
	s_mul_i32 s3, s3, s16
	s_abs_i32 s9, s9
	s_delay_alu instid0(SALU_CYCLE_1) | instskip(SKIP_1) | instid1(VALU_DEP_1)
	v_cvt_f32_u32_e32 v1, s9
	s_sub_i32 s11, 0, s9
	v_rcp_iflag_f32_e32 v1, v1
	s_waitcnt_depctr 0xfff
	v_mul_f32_e32 v1, 0x4f7ffffe, v1
	s_delay_alu instid0(VALU_DEP_1) | instskip(NEXT) | instid1(VALU_DEP_1)
	v_cvt_u32_f32_e32 v1, v1
	v_readfirstlane_b32 s10, v1
	s_delay_alu instid0(VALU_DEP_1) | instskip(NEXT) | instid1(SALU_CYCLE_1)
	s_mul_i32 s11, s11, s10
	s_mul_hi_u32 s11, s10, s11
	s_delay_alu instid0(SALU_CYCLE_1) | instskip(SKIP_2) | instid1(SALU_CYCLE_1)
	s_add_i32 s10, s10, s11
	s_ashr_i32 s11, s15, 31
	s_mul_hi_u32 s10, s12, s10
	s_mul_i32 s10, s10, s9
	s_delay_alu instid0(SALU_CYCLE_1) | instskip(NEXT) | instid1(SALU_CYCLE_1)
	s_sub_i32 s10, s12, s10
	s_sub_i32 s12, s10, s9
	s_cmp_ge_u32 s10, s9
	s_cselect_b32 s10, s12, s10
	s_delay_alu instid0(SALU_CYCLE_1)
	s_sub_i32 s12, s10, s9
	s_cmp_ge_u32 s10, s9
	s_cselect_b32 s9, s12, s10
	s_abs_i32 s10, s8
	s_xor_b32 s9, s9, s11
	v_cvt_f32_u32_e32 v1, s10
	s_sub_i32 s13, 0, s10
	s_sub_i32 s9, s9, s11
	s_delay_alu instid0(VALU_DEP_1) | instskip(SKIP_2) | instid1(VALU_DEP_1)
	v_rcp_iflag_f32_e32 v1, v1
	s_waitcnt_depctr 0xfff
	v_mul_f32_e32 v1, 0x4f7ffffe, v1
	v_cvt_u32_f32_e32 v1, v1
	s_delay_alu instid0(VALU_DEP_1) | instskip(NEXT) | instid1(VALU_DEP_1)
	v_readfirstlane_b32 s12, v1
	s_mul_i32 s13, s13, s12
	s_delay_alu instid0(SALU_CYCLE_1) | instskip(SKIP_2) | instid1(SALU_CYCLE_1)
	s_mul_hi_u32 s11, s12, s13
	s_abs_i32 s13, s9
	s_add_i32 s12, s12, s11
	s_mul_hi_u32 s11, s13, s12
	s_xor_b32 s12, s9, s8
	s_mul_i32 s14, s11, s10
	s_ashr_i32 s12, s12, 31
	s_sub_i32 s13, s13, s14
	s_add_i32 s14, s11, 1
	s_sub_i32 s15, s13, s10
	s_cmp_ge_u32 s13, s10
	s_cselect_b32 s11, s14, s11
	s_cselect_b32 s13, s15, s13
	s_add_i32 s14, s11, 1
	s_cmp_ge_u32 s13, s10
	s_cselect_b32 s10, s14, s11
	s_lshr_b32 s11, s4, 29
	s_xor_b32 s10, s10, s12
	s_add_i32 s11, s4, s11
	s_sub_i32 s10, s10, s12
	s_and_b32 s11, s11, -8
	s_mul_i32 s13, s10, s8
	s_sub_i32 s4, s4, s11
	s_cmp_ge_i32 s10, s11
	s_cselect_b32 s4, s4, 8
	s_ashr_i32 s12, s10, 31
	s_abs_i32 s11, s4
	s_lshr_b32 s12, s12, 29
	v_cvt_f32_u32_e32 v1, s11
	s_add_i32 s12, s10, s12
	s_sub_i32 s9, s9, s13
	s_and_b32 s12, s12, -8
	s_sub_i32 s13, 0, s11
	v_rcp_iflag_f32_e32 v1, v1
	s_sub_i32 s12, s10, s12
	s_delay_alu instid0(SALU_CYCLE_1) | instskip(NEXT) | instid1(SALU_CYCLE_1)
	s_mul_i32 s8, s12, s8
	s_add_i32 s8, s8, s9
	s_waitcnt_depctr 0xfff
	v_mul_f32_e32 v1, 0x4f7ffffe, v1
	s_delay_alu instid0(VALU_DEP_1) | instskip(NEXT) | instid1(VALU_DEP_1)
	v_cvt_u32_f32_e32 v1, v1
	v_readfirstlane_b32 s14, v1
	v_lshlrev_b32_e32 v1, 4, v27
	s_delay_alu instid0(VALU_DEP_2) | instskip(NEXT) | instid1(SALU_CYCLE_1)
	s_mul_i32 s13, s13, s14
	s_mul_hi_u32 s9, s14, s13
	s_abs_i32 s13, s8
	s_add_i32 s14, s14, s9
	s_delay_alu instid0(SALU_CYCLE_1)
	s_mul_hi_u32 s9, s13, s14
	s_xor_b32 s14, s8, s4
	s_mul_i32 s15, s9, s11
	s_ashr_i32 s14, s14, 31
	s_sub_i32 s13, s13, s15
	s_add_i32 s15, s9, 1
	s_sub_i32 s18, s13, s11
	s_cmp_ge_u32 s13, s11
	s_cselect_b32 s9, s15, s9
	s_cselect_b32 s13, s18, s13
	s_add_i32 s15, s9, 1
	s_cmp_ge_u32 s13, s11
	s_mov_b32 s11, 0x31004000
	s_cselect_b32 s9, s15, s9
	s_delay_alu instid0(SALU_CYCLE_1) | instskip(NEXT) | instid1(SALU_CYCLE_1)
	s_xor_b32 s9, s9, s14
	s_sub_i32 s9, s9, s14
	s_delay_alu instid0(SALU_CYCLE_1) | instskip(SKIP_2) | instid1(SALU_CYCLE_1)
	s_mul_i32 s4, s9, s4
	s_lshl_b32 s18, s9, 7
	s_sub_i32 s4, s8, s4
	s_add_i32 s4, s4, s10
	s_mul_i32 s10, s2, s7
	s_sub_i32 s4, s4, s12
	s_load_b128 s[12:15], s[0:1], 0x48
	s_lshl_b32 s4, s4, 8
	s_add_i32 s10, s6, s10
	v_add_nc_u32_e32 v4, s4, v28
	s_load_b64 s[0:1], s[0:1], 0x58
	s_mul_i32 s2, s2, s17
	s_delay_alu instid0(SALU_CYCLE_1) | instskip(NEXT) | instid1(VALU_DEP_1)
	s_add_i32 s2, s5, s2
	v_mad_u64_u32 v[2:3], null, v4, s7, v[1:2]
	v_add_nc_u32_e32 v3, s18, v30
	v_lshl_add_u32 v30, v30, 4, v31
	s_lshl_b32 s2, s2, 1
	s_delay_alu instid0(VALU_DEP_2) | instskip(SKIP_4) | instid1(VALU_DEP_1)
	v_mad_u64_u32 v[19:20], null, v3, s16, v[1:2]
	v_add_nc_u32_e32 v7, s7, v2
	s_waitcnt lgkmcnt(0)
	s_mov_b32 s8, s12
	s_mov_b32 s9, s13
	v_add_nc_u32_e32 v1, s7, v7
	s_delay_alu instid0(VALU_DEP_3) | instskip(NEXT) | instid1(VALU_DEP_2)
	v_add_nc_u32_e32 v23, s16, v19
	v_add_nc_u32_e32 v15, s7, v1
	s_clause 0x3
	buffer_load_b128 v[3:6], v2, s[8:11], 0 offen
	buffer_load_b128 v[7:10], v7, s[8:11], 0 offen
	;; [unrolled: 1-line block ×4, first 2 shown]
	v_add_nc_u32_e32 v1, 8, v23
	s_add_i32 s10, s6, s3
	s_mov_b32 s8, s14
	s_mov_b32 s9, s15
	v_lshlrev_b32_e32 v2, 3, v0
	s_clause 0x2
	buffer_load_b128 v[19:22], v19, s[8:11], 0 offen
	buffer_load_b64 v[25:26], v1, s[8:11], 0 offen
	buffer_load_b64 v[23:24], v23, s[8:11], 0 offen
	v_lshlrev_b32_e32 v1, 5, v0
	s_mov_b32 s3, s11
	v_and_b32_e32 v32, 0x400, v2
	v_and_b32_e32 v34, 56, v2
	s_delay_alu instid0(VALU_DEP_3) | instskip(SKIP_1) | instid1(VALU_DEP_2)
	v_and_b32_e32 v33, 0x200, v1
	v_dual_mov_b32 v1, 0 :: v_dual_lshlrev_b32 v28, 4, v28
	v_or3_b32 v2, v29, v33, v32
	v_lshrrev_b32_e32 v29, 3, v0
	s_delay_alu instid0(VALU_DEP_3) | instskip(SKIP_1) | instid1(VALU_DEP_4)
	v_mad_u32_u24 v27, 0x1010, v27, v28
	v_lshlrev_b32_e32 v28, 2, v34
	v_lshlrev_b32_e32 v0, 2, v2
	s_waitcnt vmcnt(2)
	v_and_b32_e32 v2, 0xff000000, v20
	v_and_b32_e32 v31, 0xff0000, v20
	;; [unrolled: 1-line block ×4, first 2 shown]
	s_waitcnt vmcnt(1)
	v_and_b32_e32 v37, 0xff000000, v26
	v_and_b32_e32 v38, 0xff0000, v26
	s_waitcnt vmcnt(0)
	v_and_b32_e32 v40, 0xff000000, v24
	v_and_b32_e32 v41, 0xff0000, v24
	;; [unrolled: 1-line block ×6, first 2 shown]
	v_or_b32_e32 v31, v31, v2
	v_or_b32_e32 v33, v35, v33
	v_and_b32_e32 v39, 0xff00, v26
	v_and_b32_e32 v26, 0xff, v26
	;; [unrolled: 1-line block ×4, first 2 shown]
	v_or_b32_e32 v35, v37, v38
	v_or_b32_e32 v37, v41, v40
	v_lshl_or_b32 v2, v29, 8, v28
	v_or3_b32 v20, v31, v32, v20
	v_or3_b32 v22, v33, v36, v22
	;; [unrolled: 1-line block ×4, first 2 shown]
	ds_store_b128 v27, v[3:6]
	ds_store_b128 v27, v[7:10] offset:16
	ds_store_b128 v27, v[11:14] offset:32
	;; [unrolled: 1-line block ×5, first 2 shown]
	s_waitcnt lgkmcnt(0)
	s_barrier
	s_waitcnt lgkmcnt(0)
	s_barrier
	ds_store_2addr_stride64_b32 v0, v1, v1 offset1:1
	ds_store_2addr_stride64_b32 v0, v1, v1 offset0:2 offset1:3
	ds_store_2addr_stride64_b32 v0, v1, v1 offset0:4 offset1:5
	;; [unrolled: 1-line block ×3, first 2 shown]
	s_waitcnt lgkmcnt(0)
	s_barrier
	ds_load_b128 v[3:6], v2
	ds_load_b128 v[7:10], v2 offset:16
	v_or_b32_e32 v11, s18, v34
	v_or_b32_e32 v14, s4, v29
	s_lshl_b32 s4, s17, 5
	s_delay_alu instid0(VALU_DEP_1) | instskip(NEXT) | instid1(VALU_DEP_1)
	v_mad_u64_u32 v[12:13], null, v14, s17, v[11:12]
	v_lshlrev_b32_e32 v13, 1, v12
	s_waitcnt lgkmcnt(1)
	v_cvt_f16_f32_e32 v3, v3
	v_cvt_f16_f32_e32 v11, v4
	;; [unrolled: 1-line block ×4, first 2 shown]
	s_waitcnt lgkmcnt(0)
	v_cvt_f16_f32_e32 v7, v7
	v_cvt_f16_f32_e32 v6, v9
	;; [unrolled: 1-line block ×4, first 2 shown]
	v_pack_b32_f16 v4, v4, v5
	v_pack_b32_f16 v3, v3, v11
	v_add_nc_u32_e32 v11, 64, v12
	v_pack_b32_f16 v6, v6, v9
	v_pack_b32_f16 v5, v7, v8
	buffer_store_b128 v[3:6], v13, s[0:3], 0 offen
	s_waitcnt lgkmcnt(0)
	s_waitcnt_vscnt null, 0x0
	s_barrier
	ds_store_2addr_stride64_b32 v0, v1, v1 offset1:1
	ds_store_2addr_stride64_b32 v0, v1, v1 offset0:2 offset1:3
	ds_store_2addr_stride64_b32 v0, v1, v1 offset0:4 offset1:5
	;; [unrolled: 1-line block ×3, first 2 shown]
	s_waitcnt lgkmcnt(0)
	s_barrier
	ds_load_b128 v[3:6], v2
	ds_load_b128 v[7:10], v2 offset:16
	s_waitcnt lgkmcnt(1)
	v_cvt_f16_f32_e32 v3, v3
	v_cvt_f16_f32_e32 v14, v4
	;; [unrolled: 1-line block ×4, first 2 shown]
	s_waitcnt lgkmcnt(0)
	v_cvt_f16_f32_e32 v7, v7
	v_cvt_f16_f32_e32 v6, v9
	;; [unrolled: 1-line block ×4, first 2 shown]
	v_lshlrev_b32_e32 v10, 1, v11
	v_pack_b32_f16 v4, v4, v5
	v_pack_b32_f16 v3, v3, v14
	v_pack_b32_f16 v6, v6, v9
	v_pack_b32_f16 v5, v7, v8
	s_clause 0x1
	buffer_store_b64 v[3:4], v10, s[0:3], 0 offen
	buffer_store_b64 v[5:6], v13, s[0:3], 0 offen offset:136
	s_waitcnt lgkmcnt(0)
	s_waitcnt_vscnt null, 0x0
	s_barrier
	ds_store_2addr_stride64_b32 v0, v1, v1 offset1:1
	ds_store_2addr_stride64_b32 v0, v1, v1 offset0:2 offset1:3
	ds_store_2addr_stride64_b32 v0, v1, v1 offset0:4 offset1:5
	;; [unrolled: 1-line block ×3, first 2 shown]
	s_waitcnt lgkmcnt(0)
	s_barrier
	ds_load_b128 v[3:6], v2
	ds_load_b128 v[7:10], v2 offset:16
	s_waitcnt lgkmcnt(1)
	v_cvt_f16_f32_e32 v3, v3
	v_cvt_f16_f32_e32 v13, v4
	;; [unrolled: 1-line block ×4, first 2 shown]
	s_waitcnt lgkmcnt(0)
	v_cvt_f16_f32_e32 v7, v7
	v_cvt_f16_f32_e32 v6, v9
	;; [unrolled: 1-line block ×4, first 2 shown]
	v_add_lshl_u32 v10, v11, s4, 1
	v_pack_b32_f16 v4, v4, v5
	v_pack_b32_f16 v3, v3, v13
	;; [unrolled: 1-line block ×4, first 2 shown]
	v_add_nc_u32_e32 v11, s4, v12
	buffer_store_b128 v[3:6], v10, s[0:3], 0 offen
	s_waitcnt lgkmcnt(0)
	s_waitcnt_vscnt null, 0x0
	s_barrier
	ds_store_2addr_stride64_b32 v0, v1, v1 offset1:1
	ds_store_2addr_stride64_b32 v0, v1, v1 offset0:2 offset1:3
	ds_store_2addr_stride64_b32 v0, v1, v1 offset0:4 offset1:5
	ds_store_2addr_stride64_b32 v0, v1, v1 offset0:6 offset1:7
	s_waitcnt lgkmcnt(0)
	s_barrier
	ds_load_b128 v[3:6], v2
	ds_load_b128 v[7:10], v2 offset:16
	s_waitcnt lgkmcnt(1)
	v_cvt_f16_f32_e32 v3, v3
	v_cvt_f16_f32_e32 v12, v4
	;; [unrolled: 1-line block ×4, first 2 shown]
	s_waitcnt lgkmcnt(0)
	v_cvt_f16_f32_e32 v7, v7
	v_cvt_f16_f32_e32 v6, v9
	;; [unrolled: 1-line block ×4, first 2 shown]
	v_lshlrev_b32_e32 v10, 1, v11
	v_pack_b32_f16 v4, v4, v5
	v_pack_b32_f16 v3, v3, v12
	;; [unrolled: 1-line block ×4, first 2 shown]
	v_add_nc_u32_e32 v11, s4, v11
	buffer_store_b128 v[3:6], v10, s[0:3], 0 offen
	s_waitcnt lgkmcnt(0)
	s_waitcnt_vscnt null, 0x0
	s_barrier
	ds_store_2addr_stride64_b32 v0, v1, v1 offset1:1
	ds_store_2addr_stride64_b32 v0, v1, v1 offset0:2 offset1:3
	ds_store_2addr_stride64_b32 v0, v1, v1 offset0:4 offset1:5
	;; [unrolled: 1-line block ×3, first 2 shown]
	s_waitcnt lgkmcnt(0)
	s_barrier
	ds_load_b128 v[3:6], v2
	ds_load_b128 v[7:10], v2 offset:16
	v_lshlrev_b32_e32 v13, 1, v11
	s_waitcnt lgkmcnt(1)
	v_cvt_f16_f32_e32 v3, v3
	v_cvt_f16_f32_e32 v12, v4
	;; [unrolled: 1-line block ×4, first 2 shown]
	s_waitcnt lgkmcnt(0)
	v_cvt_f16_f32_e32 v7, v7
	v_cvt_f16_f32_e32 v6, v9
	;; [unrolled: 1-line block ×4, first 2 shown]
	v_pack_b32_f16 v4, v4, v5
	v_pack_b32_f16 v3, v3, v12
	v_add_nc_u32_e32 v12, 64, v11
	v_pack_b32_f16 v6, v6, v9
	v_pack_b32_f16 v5, v7, v8
	v_add_nc_u32_e32 v11, s4, v11
	buffer_store_b128 v[3:6], v13, s[0:3], 0 offen
	s_waitcnt lgkmcnt(0)
	s_waitcnt_vscnt null, 0x0
	s_barrier
	ds_store_2addr_stride64_b32 v0, v1, v1 offset1:1
	ds_store_2addr_stride64_b32 v0, v1, v1 offset0:2 offset1:3
	ds_store_2addr_stride64_b32 v0, v1, v1 offset0:4 offset1:5
	ds_store_2addr_stride64_b32 v0, v1, v1 offset0:6 offset1:7
	s_waitcnt lgkmcnt(0)
	s_barrier
	ds_load_b128 v[3:6], v2
	ds_load_b128 v[7:10], v2 offset:16
	s_waitcnt lgkmcnt(1)
	v_cvt_f16_f32_e32 v3, v3
	v_cvt_f16_f32_e32 v14, v4
	;; [unrolled: 1-line block ×4, first 2 shown]
	s_waitcnt lgkmcnt(0)
	v_cvt_f16_f32_e32 v7, v7
	v_cvt_f16_f32_e32 v6, v9
	;; [unrolled: 1-line block ×4, first 2 shown]
	v_lshlrev_b32_e32 v10, 1, v12
	v_pack_b32_f16 v4, v4, v5
	v_pack_b32_f16 v3, v3, v14
	;; [unrolled: 1-line block ×4, first 2 shown]
	s_clause 0x1
	buffer_store_b64 v[3:4], v10, s[0:3], 0 offen
	buffer_store_b64 v[5:6], v13, s[0:3], 0 offen offset:136
	s_waitcnt lgkmcnt(0)
	s_waitcnt_vscnt null, 0x0
	s_barrier
	ds_store_2addr_stride64_b32 v0, v1, v1 offset1:1
	ds_store_2addr_stride64_b32 v0, v1, v1 offset0:2 offset1:3
	ds_store_2addr_stride64_b32 v0, v1, v1 offset0:4 offset1:5
	;; [unrolled: 1-line block ×3, first 2 shown]
	s_waitcnt lgkmcnt(0)
	s_barrier
	ds_load_b128 v[3:6], v2
	ds_load_b128 v[7:10], v2 offset:16
	s_waitcnt lgkmcnt(1)
	v_cvt_f16_f32_e32 v3, v3
	v_cvt_f16_f32_e32 v13, v4
	;; [unrolled: 1-line block ×4, first 2 shown]
	s_waitcnt lgkmcnt(0)
	v_cvt_f16_f32_e32 v7, v7
	v_cvt_f16_f32_e32 v6, v9
	v_cvt_f16_f32_e32 v9, v10
	v_cvt_f16_f32_e32 v8, v8
	v_add_lshl_u32 v10, v12, s4, 1
	v_pack_b32_f16 v4, v4, v5
	v_pack_b32_f16 v3, v3, v13
	;; [unrolled: 1-line block ×4, first 2 shown]
	buffer_store_b128 v[3:6], v10, s[0:3], 0 offen
	s_waitcnt lgkmcnt(0)
	s_waitcnt_vscnt null, 0x0
	s_barrier
	ds_store_2addr_stride64_b32 v0, v1, v1 offset1:1
	ds_store_2addr_stride64_b32 v0, v1, v1 offset0:2 offset1:3
	ds_store_2addr_stride64_b32 v0, v1, v1 offset0:4 offset1:5
	;; [unrolled: 1-line block ×3, first 2 shown]
	s_waitcnt lgkmcnt(0)
	s_barrier
	ds_load_b128 v[3:6], v2
	ds_load_b128 v[7:10], v2 offset:16
	s_waitcnt lgkmcnt(1)
	v_cvt_f16_f32_e32 v3, v3
	v_cvt_f16_f32_e32 v12, v4
	;; [unrolled: 1-line block ×4, first 2 shown]
	s_waitcnt lgkmcnt(0)
	v_cvt_f16_f32_e32 v7, v7
	v_cvt_f16_f32_e32 v6, v9
	;; [unrolled: 1-line block ×4, first 2 shown]
	v_lshlrev_b32_e32 v10, 1, v11
	v_pack_b32_f16 v4, v4, v5
	v_pack_b32_f16 v3, v3, v12
	v_pack_b32_f16 v6, v6, v9
	v_pack_b32_f16 v5, v7, v8
	v_add_nc_u32_e32 v11, s4, v11
	buffer_store_b128 v[3:6], v10, s[0:3], 0 offen
	s_waitcnt lgkmcnt(0)
	s_waitcnt_vscnt null, 0x0
	s_barrier
	ds_store_2addr_stride64_b32 v0, v1, v1 offset1:1
	ds_store_2addr_stride64_b32 v0, v1, v1 offset0:2 offset1:3
	ds_store_2addr_stride64_b32 v0, v1, v1 offset0:4 offset1:5
	;; [unrolled: 1-line block ×3, first 2 shown]
	s_waitcnt lgkmcnt(0)
	s_barrier
	ds_load_b128 v[3:6], v2
	ds_load_b128 v[7:10], v2 offset:16
	v_lshlrev_b32_e32 v13, 1, v11
	s_waitcnt lgkmcnt(1)
	v_cvt_f16_f32_e32 v3, v3
	v_cvt_f16_f32_e32 v12, v4
	;; [unrolled: 1-line block ×4, first 2 shown]
	s_waitcnt lgkmcnt(0)
	v_cvt_f16_f32_e32 v7, v7
	v_cvt_f16_f32_e32 v6, v9
	;; [unrolled: 1-line block ×4, first 2 shown]
	v_pack_b32_f16 v4, v4, v5
	v_pack_b32_f16 v3, v3, v12
	v_add_nc_u32_e32 v12, 64, v11
	v_pack_b32_f16 v6, v6, v9
	v_pack_b32_f16 v5, v7, v8
	v_add_nc_u32_e32 v11, s4, v11
	buffer_store_b128 v[3:6], v13, s[0:3], 0 offen
	s_waitcnt lgkmcnt(0)
	s_waitcnt_vscnt null, 0x0
	s_barrier
	ds_store_2addr_stride64_b32 v0, v1, v1 offset1:1
	ds_store_2addr_stride64_b32 v0, v1, v1 offset0:2 offset1:3
	ds_store_2addr_stride64_b32 v0, v1, v1 offset0:4 offset1:5
	;; [unrolled: 1-line block ×3, first 2 shown]
	s_waitcnt lgkmcnt(0)
	s_barrier
	ds_load_b128 v[3:6], v2
	ds_load_b128 v[7:10], v2 offset:16
	s_waitcnt lgkmcnt(1)
	v_cvt_f16_f32_e32 v3, v3
	v_cvt_f16_f32_e32 v14, v4
	;; [unrolled: 1-line block ×4, first 2 shown]
	s_waitcnt lgkmcnt(0)
	v_cvt_f16_f32_e32 v7, v7
	v_cvt_f16_f32_e32 v6, v9
	v_cvt_f16_f32_e32 v9, v10
	v_cvt_f16_f32_e32 v8, v8
	v_lshlrev_b32_e32 v10, 1, v12
	v_pack_b32_f16 v4, v4, v5
	v_pack_b32_f16 v3, v3, v14
	;; [unrolled: 1-line block ×4, first 2 shown]
	s_clause 0x1
	buffer_store_b64 v[3:4], v10, s[0:3], 0 offen
	buffer_store_b64 v[5:6], v13, s[0:3], 0 offen offset:136
	s_waitcnt lgkmcnt(0)
	s_waitcnt_vscnt null, 0x0
	s_barrier
	ds_store_2addr_stride64_b32 v0, v1, v1 offset1:1
	ds_store_2addr_stride64_b32 v0, v1, v1 offset0:2 offset1:3
	ds_store_2addr_stride64_b32 v0, v1, v1 offset0:4 offset1:5
	;; [unrolled: 1-line block ×3, first 2 shown]
	s_waitcnt lgkmcnt(0)
	s_barrier
	ds_load_b128 v[3:6], v2
	ds_load_b128 v[7:10], v2 offset:16
	s_waitcnt lgkmcnt(1)
	v_cvt_f16_f32_e32 v3, v3
	v_cvt_f16_f32_e32 v13, v4
	;; [unrolled: 1-line block ×4, first 2 shown]
	s_waitcnt lgkmcnt(0)
	v_cvt_f16_f32_e32 v7, v7
	v_cvt_f16_f32_e32 v6, v9
	v_cvt_f16_f32_e32 v9, v10
	v_cvt_f16_f32_e32 v8, v8
	v_add_lshl_u32 v10, v12, s4, 1
	v_pack_b32_f16 v4, v4, v5
	v_pack_b32_f16 v3, v3, v13
	;; [unrolled: 1-line block ×4, first 2 shown]
	buffer_store_b128 v[3:6], v10, s[0:3], 0 offen
	s_waitcnt lgkmcnt(0)
	s_waitcnt_vscnt null, 0x0
	s_barrier
	ds_store_2addr_stride64_b32 v0, v1, v1 offset1:1
	ds_store_2addr_stride64_b32 v0, v1, v1 offset0:2 offset1:3
	ds_store_2addr_stride64_b32 v0, v1, v1 offset0:4 offset1:5
	;; [unrolled: 1-line block ×3, first 2 shown]
	s_waitcnt lgkmcnt(0)
	s_barrier
	ds_load_b128 v[3:6], v2
	ds_load_b128 v[7:10], v2 offset:16
	s_waitcnt lgkmcnt(1)
	v_cvt_f16_f32_e32 v3, v3
	v_cvt_f16_f32_e32 v12, v4
	;; [unrolled: 1-line block ×4, first 2 shown]
	s_waitcnt lgkmcnt(0)
	v_cvt_f16_f32_e32 v7, v7
	v_cvt_f16_f32_e32 v6, v9
	;; [unrolled: 1-line block ×4, first 2 shown]
	v_lshlrev_b32_e32 v10, 1, v11
	v_pack_b32_f16 v4, v4, v5
	v_pack_b32_f16 v3, v3, v12
	;; [unrolled: 1-line block ×4, first 2 shown]
	v_add_nc_u32_e32 v11, s4, v11
	buffer_store_b128 v[3:6], v10, s[0:3], 0 offen
	s_waitcnt lgkmcnt(0)
	s_waitcnt_vscnt null, 0x0
	s_barrier
	ds_store_2addr_stride64_b32 v0, v1, v1 offset1:1
	ds_store_2addr_stride64_b32 v0, v1, v1 offset0:2 offset1:3
	ds_store_2addr_stride64_b32 v0, v1, v1 offset0:4 offset1:5
	;; [unrolled: 1-line block ×3, first 2 shown]
	s_waitcnt lgkmcnt(0)
	s_barrier
	ds_load_b128 v[3:6], v2
	ds_load_b128 v[7:10], v2 offset:16
	v_lshlrev_b32_e32 v13, 1, v11
	s_waitcnt lgkmcnt(1)
	v_cvt_f16_f32_e32 v3, v3
	v_cvt_f16_f32_e32 v12, v4
	;; [unrolled: 1-line block ×4, first 2 shown]
	s_waitcnt lgkmcnt(0)
	v_cvt_f16_f32_e32 v7, v7
	v_cvt_f16_f32_e32 v6, v9
	;; [unrolled: 1-line block ×4, first 2 shown]
	v_pack_b32_f16 v4, v4, v5
	v_pack_b32_f16 v3, v3, v12
	v_add_nc_u32_e32 v12, 64, v11
	v_pack_b32_f16 v6, v6, v9
	v_pack_b32_f16 v5, v7, v8
	buffer_store_b128 v[3:6], v13, s[0:3], 0 offen
	s_waitcnt lgkmcnt(0)
	s_waitcnt_vscnt null, 0x0
	s_barrier
	ds_store_2addr_stride64_b32 v0, v1, v1 offset1:1
	ds_store_2addr_stride64_b32 v0, v1, v1 offset0:2 offset1:3
	ds_store_2addr_stride64_b32 v0, v1, v1 offset0:4 offset1:5
	;; [unrolled: 1-line block ×3, first 2 shown]
	s_waitcnt lgkmcnt(0)
	s_barrier
	ds_load_b128 v[3:6], v2
	ds_load_b128 v[7:10], v2 offset:16
	s_waitcnt lgkmcnt(1)
	v_cvt_f16_f32_e32 v3, v3
	v_cvt_f16_f32_e32 v14, v4
	;; [unrolled: 1-line block ×4, first 2 shown]
	s_waitcnt lgkmcnt(0)
	v_cvt_f16_f32_e32 v7, v7
	v_cvt_f16_f32_e32 v6, v9
	;; [unrolled: 1-line block ×4, first 2 shown]
	v_lshlrev_b32_e32 v10, 1, v12
	v_pack_b32_f16 v4, v4, v5
	v_pack_b32_f16 v3, v3, v14
	;; [unrolled: 1-line block ×4, first 2 shown]
	s_clause 0x1
	buffer_store_b64 v[3:4], v10, s[0:3], 0 offen
	buffer_store_b64 v[5:6], v13, s[0:3], 0 offen offset:136
	s_waitcnt lgkmcnt(0)
	s_waitcnt_vscnt null, 0x0
	s_barrier
	ds_store_2addr_stride64_b32 v0, v1, v1 offset1:1
	ds_store_2addr_stride64_b32 v0, v1, v1 offset0:2 offset1:3
	ds_store_2addr_stride64_b32 v0, v1, v1 offset0:4 offset1:5
	;; [unrolled: 1-line block ×3, first 2 shown]
	s_waitcnt lgkmcnt(0)
	s_barrier
	ds_load_b128 v[3:6], v2
	ds_load_b128 v[7:10], v2 offset:16
	s_waitcnt lgkmcnt(1)
	v_cvt_f16_f32_e32 v3, v3
	v_cvt_f16_f32_e32 v13, v4
	;; [unrolled: 1-line block ×4, first 2 shown]
	s_waitcnt lgkmcnt(0)
	v_cvt_f16_f32_e32 v7, v7
	v_cvt_f16_f32_e32 v6, v9
	;; [unrolled: 1-line block ×4, first 2 shown]
	v_add_lshl_u32 v10, v12, s4, 1
	v_pack_b32_f16 v4, v4, v5
	v_pack_b32_f16 v3, v3, v13
	v_pack_b32_f16 v6, v6, v9
	v_pack_b32_f16 v5, v7, v8
	buffer_store_b128 v[3:6], v10, s[0:3], 0 offen
	s_waitcnt lgkmcnt(0)
	s_waitcnt_vscnt null, 0x0
	s_barrier
	ds_store_2addr_stride64_b32 v0, v1, v1 offset1:1
	ds_store_2addr_stride64_b32 v0, v1, v1 offset0:2 offset1:3
	ds_store_2addr_stride64_b32 v0, v1, v1 offset0:4 offset1:5
	;; [unrolled: 1-line block ×3, first 2 shown]
	s_waitcnt lgkmcnt(0)
	s_barrier
	ds_load_b128 v[3:6], v2
	ds_load_b128 v[7:10], v2 offset:16
	s_waitcnt lgkmcnt(1)
	v_cvt_f16_f32_e32 v0, v3
	v_cvt_f16_f32_e32 v2, v4
	;; [unrolled: 1-line block ×4, first 2 shown]
	s_waitcnt lgkmcnt(0)
	v_cvt_f16_f32_e32 v4, v7
	v_cvt_f16_f32_e32 v5, v9
	v_cvt_f16_f32_e32 v6, v10
	v_cvt_f16_f32_e32 v7, v8
	v_add_lshl_u32 v8, v11, s4, 1
	v_pack_b32_f16 v1, v1, v3
	v_pack_b32_f16 v0, v0, v2
	;; [unrolled: 1-line block ×4, first 2 shown]
	buffer_store_b128 v[0:3], v8, s[0:3], 0 offen
	s_nop 0
	s_sendmsg sendmsg(MSG_DEALLOC_VGPRS)
	s_endpgm
	.section	.rodata,"a",@progbits
	.p2align	6, 0x0
	.amdhsa_kernel _ZN2ck27kernel_gemm_xdl_cshuffle_v1INS_43GridwiseGemm_k0mk1_k0nk1_mn_xdl_cshuffle_v1INS_13tensor_layout4gemm8RowMajorENS3_11ColumnMajorES4_NS_9f8_fnuz_tENS_10bf8_fnuz_tEffDF16_NS_16tensor_operation12element_wise11PassThroughESA_SA_LNS8_6device18GemmSpecializationE0ELNS_25InMemoryDataOperationEnumE0ELi1ELi256ELi256ELi128ELi64ELi16ELi16ELi16ELi16ELi8ELi2ENS_8SequenceIJLi4ELi64ELi1EEEENSE_IJLi1ELi0ELi2EEEESG_Li2ELi16ELi16ELb0ELi1ESF_SG_SG_Li2ELi8ELi8ELb0ELi1ELi1ELi1ENSE_IJLi1ELi32ELi1ELi8EEEELi4ELNS_13LoopSchedulerE0ELNS_15PipelineVersionE0ES6_S7_EELb0EEEvNT_8ArgumentE
		.amdhsa_group_segment_fixed_size 24672
		.amdhsa_private_segment_fixed_size 0
		.amdhsa_kernarg_size 96
		.amdhsa_user_sgpr_count 15
		.amdhsa_user_sgpr_dispatch_ptr 0
		.amdhsa_user_sgpr_queue_ptr 0
		.amdhsa_user_sgpr_kernarg_segment_ptr 1
		.amdhsa_user_sgpr_dispatch_id 0
		.amdhsa_user_sgpr_private_segment_size 0
		.amdhsa_wavefront_size32 1
		.amdhsa_uses_dynamic_stack 0
		.amdhsa_enable_private_segment 0
		.amdhsa_system_sgpr_workgroup_id_x 1
		.amdhsa_system_sgpr_workgroup_id_y 0
		.amdhsa_system_sgpr_workgroup_id_z 0
		.amdhsa_system_sgpr_workgroup_info 0
		.amdhsa_system_vgpr_workitem_id 0
		.amdhsa_next_free_vgpr 43
		.amdhsa_next_free_sgpr 19
		.amdhsa_reserve_vcc 0
		.amdhsa_float_round_mode_32 0
		.amdhsa_float_round_mode_16_64 0
		.amdhsa_float_denorm_mode_32 3
		.amdhsa_float_denorm_mode_16_64 3
		.amdhsa_dx10_clamp 1
		.amdhsa_ieee_mode 1
		.amdhsa_fp16_overflow 0
		.amdhsa_workgroup_processor_mode 1
		.amdhsa_memory_ordered 1
		.amdhsa_forward_progress 0
		.amdhsa_shared_vgpr_count 0
		.amdhsa_exception_fp_ieee_invalid_op 0
		.amdhsa_exception_fp_denorm_src 0
		.amdhsa_exception_fp_ieee_div_zero 0
		.amdhsa_exception_fp_ieee_overflow 0
		.amdhsa_exception_fp_ieee_underflow 0
		.amdhsa_exception_fp_ieee_inexact 0
		.amdhsa_exception_int_div_zero 0
	.end_amdhsa_kernel
	.section	.text._ZN2ck27kernel_gemm_xdl_cshuffle_v1INS_43GridwiseGemm_k0mk1_k0nk1_mn_xdl_cshuffle_v1INS_13tensor_layout4gemm8RowMajorENS3_11ColumnMajorES4_NS_9f8_fnuz_tENS_10bf8_fnuz_tEffDF16_NS_16tensor_operation12element_wise11PassThroughESA_SA_LNS8_6device18GemmSpecializationE0ELNS_25InMemoryDataOperationEnumE0ELi1ELi256ELi256ELi128ELi64ELi16ELi16ELi16ELi16ELi8ELi2ENS_8SequenceIJLi4ELi64ELi1EEEENSE_IJLi1ELi0ELi2EEEESG_Li2ELi16ELi16ELb0ELi1ESF_SG_SG_Li2ELi8ELi8ELb0ELi1ELi1ELi1ENSE_IJLi1ELi32ELi1ELi8EEEELi4ELNS_13LoopSchedulerE0ELNS_15PipelineVersionE0ES6_S7_EELb0EEEvNT_8ArgumentE,"axG",@progbits,_ZN2ck27kernel_gemm_xdl_cshuffle_v1INS_43GridwiseGemm_k0mk1_k0nk1_mn_xdl_cshuffle_v1INS_13tensor_layout4gemm8RowMajorENS3_11ColumnMajorES4_NS_9f8_fnuz_tENS_10bf8_fnuz_tEffDF16_NS_16tensor_operation12element_wise11PassThroughESA_SA_LNS8_6device18GemmSpecializationE0ELNS_25InMemoryDataOperationEnumE0ELi1ELi256ELi256ELi128ELi64ELi16ELi16ELi16ELi16ELi8ELi2ENS_8SequenceIJLi4ELi64ELi1EEEENSE_IJLi1ELi0ELi2EEEESG_Li2ELi16ELi16ELb0ELi1ESF_SG_SG_Li2ELi8ELi8ELb0ELi1ELi1ELi1ENSE_IJLi1ELi32ELi1ELi8EEEELi4ELNS_13LoopSchedulerE0ELNS_15PipelineVersionE0ES6_S7_EELb0EEEvNT_8ArgumentE,comdat
.Lfunc_end4:
	.size	_ZN2ck27kernel_gemm_xdl_cshuffle_v1INS_43GridwiseGemm_k0mk1_k0nk1_mn_xdl_cshuffle_v1INS_13tensor_layout4gemm8RowMajorENS3_11ColumnMajorES4_NS_9f8_fnuz_tENS_10bf8_fnuz_tEffDF16_NS_16tensor_operation12element_wise11PassThroughESA_SA_LNS8_6device18GemmSpecializationE0ELNS_25InMemoryDataOperationEnumE0ELi1ELi256ELi256ELi128ELi64ELi16ELi16ELi16ELi16ELi8ELi2ENS_8SequenceIJLi4ELi64ELi1EEEENSE_IJLi1ELi0ELi2EEEESG_Li2ELi16ELi16ELb0ELi1ESF_SG_SG_Li2ELi8ELi8ELb0ELi1ELi1ELi1ENSE_IJLi1ELi32ELi1ELi8EEEELi4ELNS_13LoopSchedulerE0ELNS_15PipelineVersionE0ES6_S7_EELb0EEEvNT_8ArgumentE, .Lfunc_end4-_ZN2ck27kernel_gemm_xdl_cshuffle_v1INS_43GridwiseGemm_k0mk1_k0nk1_mn_xdl_cshuffle_v1INS_13tensor_layout4gemm8RowMajorENS3_11ColumnMajorES4_NS_9f8_fnuz_tENS_10bf8_fnuz_tEffDF16_NS_16tensor_operation12element_wise11PassThroughESA_SA_LNS8_6device18GemmSpecializationE0ELNS_25InMemoryDataOperationEnumE0ELi1ELi256ELi256ELi128ELi64ELi16ELi16ELi16ELi16ELi8ELi2ENS_8SequenceIJLi4ELi64ELi1EEEENSE_IJLi1ELi0ELi2EEEESG_Li2ELi16ELi16ELb0ELi1ESF_SG_SG_Li2ELi8ELi8ELb0ELi1ELi1ELi1ENSE_IJLi1ELi32ELi1ELi8EEEELi4ELNS_13LoopSchedulerE0ELNS_15PipelineVersionE0ES6_S7_EELb0EEEvNT_8ArgumentE
                                        ; -- End function
	.section	.AMDGPU.csdata,"",@progbits
; Kernel info:
; codeLenInByte = 3712
; NumSgprs: 19
; NumVgprs: 43
; ScratchSize: 0
; MemoryBound: 0
; FloatMode: 240
; IeeeMode: 1
; LDSByteSize: 24672 bytes/workgroup (compile time only)
; SGPRBlocks: 2
; VGPRBlocks: 5
; NumSGPRsForWavesPerEU: 19
; NumVGPRsForWavesPerEU: 43
; Occupancy: 10
; WaveLimiterHint : 0
; COMPUTE_PGM_RSRC2:SCRATCH_EN: 0
; COMPUTE_PGM_RSRC2:USER_SGPR: 15
; COMPUTE_PGM_RSRC2:TRAP_HANDLER: 0
; COMPUTE_PGM_RSRC2:TGID_X_EN: 1
; COMPUTE_PGM_RSRC2:TGID_Y_EN: 0
; COMPUTE_PGM_RSRC2:TGID_Z_EN: 0
; COMPUTE_PGM_RSRC2:TIDIG_COMP_CNT: 0
	.section	.text._ZN2ck17naive_gemm_kernelINS_13tensor_layout4gemm8RowMajorENS2_11ColumnMajorES3_NS_9f8_fnuz_tENS_10bf8_fnuz_tEDF16_fNS_16tensor_operation12element_wise11PassThroughES9_S9_DF16_DF16_EEvPKT2_PKT3_PT4_iiiT6_T7_T8_,"axG",@progbits,_ZN2ck17naive_gemm_kernelINS_13tensor_layout4gemm8RowMajorENS2_11ColumnMajorES3_NS_9f8_fnuz_tENS_10bf8_fnuz_tEDF16_fNS_16tensor_operation12element_wise11PassThroughES9_S9_DF16_DF16_EEvPKT2_PKT3_PT4_iiiT6_T7_T8_,comdat
	.protected	_ZN2ck17naive_gemm_kernelINS_13tensor_layout4gemm8RowMajorENS2_11ColumnMajorES3_NS_9f8_fnuz_tENS_10bf8_fnuz_tEDF16_fNS_16tensor_operation12element_wise11PassThroughES9_S9_DF16_DF16_EEvPKT2_PKT3_PT4_iiiT6_T7_T8_ ; -- Begin function _ZN2ck17naive_gemm_kernelINS_13tensor_layout4gemm8RowMajorENS2_11ColumnMajorES3_NS_9f8_fnuz_tENS_10bf8_fnuz_tEDF16_fNS_16tensor_operation12element_wise11PassThroughES9_S9_DF16_DF16_EEvPKT2_PKT3_PT4_iiiT6_T7_T8_
	.globl	_ZN2ck17naive_gemm_kernelINS_13tensor_layout4gemm8RowMajorENS2_11ColumnMajorES3_NS_9f8_fnuz_tENS_10bf8_fnuz_tEDF16_fNS_16tensor_operation12element_wise11PassThroughES9_S9_DF16_DF16_EEvPKT2_PKT3_PT4_iiiT6_T7_T8_
	.p2align	8
	.type	_ZN2ck17naive_gemm_kernelINS_13tensor_layout4gemm8RowMajorENS2_11ColumnMajorES3_NS_9f8_fnuz_tENS_10bf8_fnuz_tEDF16_fNS_16tensor_operation12element_wise11PassThroughES9_S9_DF16_DF16_EEvPKT2_PKT3_PT4_iiiT6_T7_T8_,@function
_ZN2ck17naive_gemm_kernelINS_13tensor_layout4gemm8RowMajorENS2_11ColumnMajorES3_NS_9f8_fnuz_tENS_10bf8_fnuz_tEDF16_fNS_16tensor_operation12element_wise11PassThroughES9_S9_DF16_DF16_EEvPKT2_PKT3_PT4_iiiT6_T7_T8_: ; @_ZN2ck17naive_gemm_kernelINS_13tensor_layout4gemm8RowMajorENS2_11ColumnMajorES3_NS_9f8_fnuz_tENS_10bf8_fnuz_tEDF16_fNS_16tensor_operation12element_wise11PassThroughES9_S9_DF16_DF16_EEvPKT2_PKT3_PT4_iiiT6_T7_T8_
; %bb.0:
	s_clause 0x1
	s_load_b32 s2, s[0:1], 0x34
	s_load_b128 s[4:7], s[0:1], 0x18
	v_and_b32_e32 v2, 0x3ff, v0
	v_bfe_u32 v3, v0, 10, 10
	s_waitcnt lgkmcnt(0)
	s_lshr_b32 s3, s2, 16
	s_and_b32 s2, s2, 0xffff
	s_delay_alu instid0(VALU_DEP_1) | instid1(SALU_CYCLE_1)
	v_mad_u64_u32 v[0:1], null, s14, s2, v[2:3]
	v_mad_u64_u32 v[1:2], null, s15, s3, v[3:4]
	s_delay_alu instid0(VALU_DEP_2) | instskip(NEXT) | instid1(VALU_DEP_2)
	v_cmp_gt_i32_e32 vcc_lo, s4, v0
	v_cmp_gt_i32_e64 s2, s5, v1
	s_delay_alu instid0(VALU_DEP_1) | instskip(NEXT) | instid1(SALU_CYCLE_1)
	s_and_b32 s2, vcc_lo, s2
	s_and_saveexec_b32 s3, s2
	s_cbranch_execz .LBB5_23
; %bb.1:
	s_load_b64 s[8:9], s[0:1], 0x10
	s_cmp_lt_i32 s6, 1
	s_cbranch_scc1 .LBB5_21
; %bb.2:
	s_load_b128 s[0:3], s[0:1], 0x0
	v_mul_lo_u32 v2, v0, s6
	v_mul_lo_u32 v4, v1, s6
	v_mov_b32_e32 v5, 0
	s_delay_alu instid0(VALU_DEP_3) | instskip(SKIP_2) | instid1(VALU_DEP_2)
	v_ashrrev_i32_e32 v3, 31, v2
	s_waitcnt lgkmcnt(0)
	v_add_co_u32 v2, vcc_lo, s0, v2
	v_add_co_ci_u32_e32 v3, vcc_lo, s1, v3, vcc_lo
	s_branch .LBB5_4
.LBB5_3:                                ;   in Loop: Header=BB5_4 Depth=1
	s_or_b32 exec_lo, exec_lo, s0
	v_add_co_u32 v2, vcc_lo, v2, 1
	s_delay_alu instid0(VALU_DEP_2) | instskip(SKIP_3) | instid1(SALU_CYCLE_1)
	v_fma_mix_f32 v5, v6, v8, v5 op_sel_hi:[1,1,0]
	v_add_nc_u32_e32 v4, 1, v4
	v_add_co_ci_u32_e32 v3, vcc_lo, 0, v3, vcc_lo
	s_add_i32 s6, s6, -1
	s_cmp_eq_u32 s6, 0
	s_cbranch_scc1 .LBB5_20
.LBB5_4:                                ; =>This Inner Loop Header: Depth=1
	global_load_u8 v7, v[2:3], off
	s_mov_b32 s0, 0
	s_mov_b32 s4, exec_lo
                                        ; implicit-def: $sgpr1
	s_waitcnt vmcnt(0)
	v_cmpx_lt_i16_e32 0x7f, v7
	s_xor_b32 s4, exec_lo, s4
	s_cbranch_execnz .LBB5_11
; %bb.5:                                ;   in Loop: Header=BB5_4 Depth=1
	s_or_saveexec_b32 s4, s4
	v_mov_b32_e32 v6, s1
	s_xor_b32 exec_lo, exec_lo, s4
	s_cbranch_execnz .LBB5_14
.LBB5_6:                                ;   in Loop: Header=BB5_4 Depth=1
	s_or_b32 exec_lo, exec_lo, s4
	s_and_saveexec_b32 s1, s0
	s_cbranch_execz .LBB5_8
.LBB5_7:                                ;   in Loop: Header=BB5_4 Depth=1
	v_and_b32_e32 v6, 7, v7
	v_lshrrev_b16 v9, 3, v7
	v_lshrrev_b16 v7, 7, v7
	s_delay_alu instid0(VALU_DEP_3) | instskip(NEXT) | instid1(VALU_DEP_2)
	v_clz_i32_u32_e32 v8, v6
	v_lshlrev_b32_e32 v7, 15, v7
	s_delay_alu instid0(VALU_DEP_2) | instskip(NEXT) | instid1(VALU_DEP_1)
	v_min_u32_e32 v8, 32, v8
	v_subrev_nc_u32_e32 v10, 28, v8
	v_sub_nc_u32_e32 v8, 29, v8
	s_delay_alu instid0(VALU_DEP_2) | instskip(NEXT) | instid1(VALU_DEP_1)
	v_lshlrev_b32_e32 v10, v10, v6
	v_and_b32_e32 v10, 7, v10
	v_and_b32_e32 v9, 15, v9
	s_delay_alu instid0(VALU_DEP_1) | instskip(NEXT) | instid1(VALU_DEP_3)
	v_cmp_eq_u16_e32 vcc_lo, 0, v9
	v_dual_cndmask_b32 v6, v6, v10 :: v_dual_and_b32 v11, 0xffff, v9
	s_delay_alu instid0(VALU_DEP_1) | instskip(NEXT) | instid1(VALU_DEP_2)
	v_lshlrev_b32_e32 v6, 7, v6
	v_cndmask_b32_e32 v8, v11, v8, vcc_lo
	s_delay_alu instid0(VALU_DEP_1) | instskip(NEXT) | instid1(VALU_DEP_1)
	v_lshl_add_u32 v8, v8, 10, 0x1c00
	v_or3_b32 v6, v7, v8, v6
.LBB5_8:                                ;   in Loop: Header=BB5_4 Depth=1
	s_or_b32 exec_lo, exec_lo, s1
	v_ashrrev_i32_e32 v8, 31, v4
	v_add_co_u32 v7, vcc_lo, s2, v4
	s_mov_b32 s1, 0
	s_mov_b32 s4, exec_lo
	s_delay_alu instid0(VALU_DEP_2)
	v_add_co_ci_u32_e32 v8, vcc_lo, s3, v8, vcc_lo
                                        ; implicit-def: $sgpr0
	global_load_u8 v7, v[7:8], off
	s_waitcnt vmcnt(0)
	v_cmpx_lt_i16_e32 0x7f, v7
	s_xor_b32 s4, exec_lo, s4
	s_cbranch_execnz .LBB5_15
; %bb.9:                                ;   in Loop: Header=BB5_4 Depth=1
	s_or_saveexec_b32 s4, s4
	v_mov_b32_e32 v8, s0
	s_xor_b32 exec_lo, exec_lo, s4
	s_cbranch_execnz .LBB5_18
.LBB5_10:                               ;   in Loop: Header=BB5_4 Depth=1
	s_or_b32 exec_lo, exec_lo, s4
	s_and_saveexec_b32 s0, s1
	s_cbranch_execz .LBB5_3
	s_branch .LBB5_19
.LBB5_11:                               ;   in Loop: Header=BB5_4 Depth=1
	s_mov_b32 s0, -1
	s_mov_b32 s7, exec_lo
                                        ; implicit-def: $sgpr1
	v_cmpx_eq_u16_e32 0x80, v7
; %bb.12:                               ;   in Loop: Header=BB5_4 Depth=1
	s_movk_i32 s1, 0x7c01
	s_xor_b32 s0, exec_lo, -1
; %bb.13:                               ;   in Loop: Header=BB5_4 Depth=1
	s_or_b32 exec_lo, exec_lo, s7
	s_delay_alu instid0(SALU_CYCLE_1)
	s_and_b32 s0, s0, exec_lo
	s_or_saveexec_b32 s4, s4
	v_mov_b32_e32 v6, s1
	s_xor_b32 exec_lo, exec_lo, s4
	s_cbranch_execz .LBB5_6
.LBB5_14:                               ;   in Loop: Header=BB5_4 Depth=1
	v_cmp_ne_u16_e32 vcc_lo, 0, v7
	v_mov_b32_e32 v6, 0
	s_and_not1_b32 s0, s0, exec_lo
	s_and_b32 s1, vcc_lo, exec_lo
	s_delay_alu instid0(SALU_CYCLE_1)
	s_or_b32 s0, s0, s1
	s_or_b32 exec_lo, exec_lo, s4
	s_and_saveexec_b32 s1, s0
	s_cbranch_execnz .LBB5_7
	s_branch .LBB5_8
.LBB5_15:                               ;   in Loop: Header=BB5_4 Depth=1
	s_mov_b32 s1, -1
	s_mov_b32 s7, exec_lo
                                        ; implicit-def: $sgpr0
	v_cmpx_eq_u16_e32 0x80, v7
; %bb.16:                               ;   in Loop: Header=BB5_4 Depth=1
	s_movk_i32 s0, 0x7c01
	s_xor_b32 s1, exec_lo, -1
; %bb.17:                               ;   in Loop: Header=BB5_4 Depth=1
	s_or_b32 exec_lo, exec_lo, s7
	s_delay_alu instid0(SALU_CYCLE_1)
	s_and_b32 s1, s1, exec_lo
	s_or_saveexec_b32 s4, s4
	v_mov_b32_e32 v8, s0
	s_xor_b32 exec_lo, exec_lo, s4
	s_cbranch_execz .LBB5_10
.LBB5_18:                               ;   in Loop: Header=BB5_4 Depth=1
	v_cmp_ne_u16_e32 vcc_lo, 0, v7
	v_mov_b32_e32 v8, 0
	s_and_not1_b32 s0, s1, exec_lo
	s_and_b32 s1, vcc_lo, exec_lo
	s_delay_alu instid0(SALU_CYCLE_1)
	s_or_b32 s1, s0, s1
	s_or_b32 exec_lo, exec_lo, s4
	s_and_saveexec_b32 s0, s1
	s_cbranch_execz .LBB5_3
.LBB5_19:                               ;   in Loop: Header=BB5_4 Depth=1
	v_lshrrev_b16 v11, 2, v7
	s_delay_alu instid0(VALU_DEP_1) | instskip(NEXT) | instid1(VALU_DEP_1)
	v_and_b32_e32 v11, 31, v11
	v_and_b32_e32 v12, 0xffff, v11
	v_cmp_eq_u16_e32 vcc_lo, 0, v11
	v_and_b32_e32 v8, 3, v7
	v_lshrrev_b16 v7, 7, v7
	s_delay_alu instid0(VALU_DEP_2) | instskip(NEXT) | instid1(VALU_DEP_1)
	v_clz_i32_u32_e32 v9, v8
	v_min_u32_e32 v9, 32, v9
	s_delay_alu instid0(VALU_DEP_1) | instskip(SKIP_1) | instid1(VALU_DEP_1)
	v_subrev_nc_u32_e32 v10, 29, v9
	v_sub_nc_u32_e32 v9, 30, v9
	v_dual_cndmask_b32 v9, v12, v9 :: v_dual_lshlrev_b32 v10, v10, v8
	s_delay_alu instid0(VALU_DEP_1) | instskip(NEXT) | instid1(VALU_DEP_2)
	v_lshl_add_u32 v12, v9, 10, 0xfc00
	v_and_b32_e32 v10, 3, v10
	s_delay_alu instid0(VALU_DEP_1) | instskip(SKIP_2) | instid1(VALU_DEP_3)
	v_cndmask_b32_e32 v8, v8, v10, vcc_lo
	v_sub_nc_u32_e32 v10, 2, v9
	v_cmp_gt_i32_e32 vcc_lo, 2, v9
	v_lshlrev_b32_e32 v8, 8, v8
	v_cndmask_b32_e64 v9, v12, 0, vcc_lo
	s_delay_alu instid0(VALU_DEP_2) | instskip(NEXT) | instid1(VALU_DEP_1)
	v_or_b32_e32 v11, 0x400, v8
	v_lshrrev_b32_e32 v10, v10, v11
	s_delay_alu instid0(VALU_DEP_1) | instskip(NEXT) | instid1(VALU_DEP_1)
	v_dual_cndmask_b32 v8, v8, v10 :: v_dual_lshlrev_b32 v7, 15, v7
	v_or3_b32 v8, v9, v7, v8
	s_branch .LBB5_3
.LBB5_20:
	v_cvt_f16_f32_e32 v2, v5
	s_branch .LBB5_22
.LBB5_21:
	v_mov_b32_e32 v2, 0
.LBB5_22:
	s_delay_alu instid0(VALU_DEP_1) | instskip(NEXT) | instid1(VALU_DEP_1)
	v_mad_u64_u32 v[3:4], null, v0, s5, v[1:2]
	v_ashrrev_i32_e32 v4, 31, v3
	s_delay_alu instid0(VALU_DEP_1) | instskip(SKIP_1) | instid1(VALU_DEP_1)
	v_lshlrev_b64 v[0:1], 1, v[3:4]
	s_waitcnt lgkmcnt(0)
	v_add_co_u32 v0, vcc_lo, s8, v0
	s_delay_alu instid0(VALU_DEP_2)
	v_add_co_ci_u32_e32 v1, vcc_lo, s9, v1, vcc_lo
	global_store_b16 v[0:1], v2, off
.LBB5_23:
	s_nop 0
	s_sendmsg sendmsg(MSG_DEALLOC_VGPRS)
	s_endpgm
	.section	.rodata,"a",@progbits
	.p2align	6, 0x0
	.amdhsa_kernel _ZN2ck17naive_gemm_kernelINS_13tensor_layout4gemm8RowMajorENS2_11ColumnMajorES3_NS_9f8_fnuz_tENS_10bf8_fnuz_tEDF16_fNS_16tensor_operation12element_wise11PassThroughES9_S9_DF16_DF16_EEvPKT2_PKT3_PT4_iiiT6_T7_T8_
		.amdhsa_group_segment_fixed_size 0
		.amdhsa_private_segment_fixed_size 0
		.amdhsa_kernarg_size 296
		.amdhsa_user_sgpr_count 14
		.amdhsa_user_sgpr_dispatch_ptr 0
		.amdhsa_user_sgpr_queue_ptr 0
		.amdhsa_user_sgpr_kernarg_segment_ptr 1
		.amdhsa_user_sgpr_dispatch_id 0
		.amdhsa_user_sgpr_private_segment_size 0
		.amdhsa_wavefront_size32 1
		.amdhsa_uses_dynamic_stack 0
		.amdhsa_enable_private_segment 0
		.amdhsa_system_sgpr_workgroup_id_x 1
		.amdhsa_system_sgpr_workgroup_id_y 1
		.amdhsa_system_sgpr_workgroup_id_z 0
		.amdhsa_system_sgpr_workgroup_info 0
		.amdhsa_system_vgpr_workitem_id 1
		.amdhsa_next_free_vgpr 13
		.amdhsa_next_free_sgpr 16
		.amdhsa_reserve_vcc 1
		.amdhsa_float_round_mode_32 0
		.amdhsa_float_round_mode_16_64 0
		.amdhsa_float_denorm_mode_32 3
		.amdhsa_float_denorm_mode_16_64 3
		.amdhsa_dx10_clamp 1
		.amdhsa_ieee_mode 1
		.amdhsa_fp16_overflow 0
		.amdhsa_workgroup_processor_mode 1
		.amdhsa_memory_ordered 1
		.amdhsa_forward_progress 0
		.amdhsa_shared_vgpr_count 0
		.amdhsa_exception_fp_ieee_invalid_op 0
		.amdhsa_exception_fp_denorm_src 0
		.amdhsa_exception_fp_ieee_div_zero 0
		.amdhsa_exception_fp_ieee_overflow 0
		.amdhsa_exception_fp_ieee_underflow 0
		.amdhsa_exception_fp_ieee_inexact 0
		.amdhsa_exception_int_div_zero 0
	.end_amdhsa_kernel
	.section	.text._ZN2ck17naive_gemm_kernelINS_13tensor_layout4gemm8RowMajorENS2_11ColumnMajorES3_NS_9f8_fnuz_tENS_10bf8_fnuz_tEDF16_fNS_16tensor_operation12element_wise11PassThroughES9_S9_DF16_DF16_EEvPKT2_PKT3_PT4_iiiT6_T7_T8_,"axG",@progbits,_ZN2ck17naive_gemm_kernelINS_13tensor_layout4gemm8RowMajorENS2_11ColumnMajorES3_NS_9f8_fnuz_tENS_10bf8_fnuz_tEDF16_fNS_16tensor_operation12element_wise11PassThroughES9_S9_DF16_DF16_EEvPKT2_PKT3_PT4_iiiT6_T7_T8_,comdat
.Lfunc_end5:
	.size	_ZN2ck17naive_gemm_kernelINS_13tensor_layout4gemm8RowMajorENS2_11ColumnMajorES3_NS_9f8_fnuz_tENS_10bf8_fnuz_tEDF16_fNS_16tensor_operation12element_wise11PassThroughES9_S9_DF16_DF16_EEvPKT2_PKT3_PT4_iiiT6_T7_T8_, .Lfunc_end5-_ZN2ck17naive_gemm_kernelINS_13tensor_layout4gemm8RowMajorENS2_11ColumnMajorES3_NS_9f8_fnuz_tENS_10bf8_fnuz_tEDF16_fNS_16tensor_operation12element_wise11PassThroughES9_S9_DF16_DF16_EEvPKT2_PKT3_PT4_iiiT6_T7_T8_
                                        ; -- End function
	.section	.AMDGPU.csdata,"",@progbits
; Kernel info:
; codeLenInByte = 916
; NumSgprs: 18
; NumVgprs: 13
; ScratchSize: 0
; MemoryBound: 0
; FloatMode: 240
; IeeeMode: 1
; LDSByteSize: 0 bytes/workgroup (compile time only)
; SGPRBlocks: 2
; VGPRBlocks: 1
; NumSGPRsForWavesPerEU: 18
; NumVGPRsForWavesPerEU: 13
; Occupancy: 16
; WaveLimiterHint : 0
; COMPUTE_PGM_RSRC2:SCRATCH_EN: 0
; COMPUTE_PGM_RSRC2:USER_SGPR: 14
; COMPUTE_PGM_RSRC2:TRAP_HANDLER: 0
; COMPUTE_PGM_RSRC2:TGID_X_EN: 1
; COMPUTE_PGM_RSRC2:TGID_Y_EN: 1
; COMPUTE_PGM_RSRC2:TGID_Z_EN: 0
; COMPUTE_PGM_RSRC2:TIDIG_COMP_CNT: 1
	.text
	.p2alignl 7, 3214868480
	.fill 96, 4, 3214868480
	.type	__hip_cuid_23f41b4f055be160,@object ; @__hip_cuid_23f41b4f055be160
	.section	.bss,"aw",@nobits
	.globl	__hip_cuid_23f41b4f055be160
__hip_cuid_23f41b4f055be160:
	.byte	0                               ; 0x0
	.size	__hip_cuid_23f41b4f055be160, 1

	.ident	"AMD clang version 19.0.0git (https://github.com/RadeonOpenCompute/llvm-project roc-6.4.0 25133 c7fe45cf4b819c5991fe208aaa96edf142730f1d)"
	.section	".note.GNU-stack","",@progbits
	.addrsig
	.addrsig_sym __hip_cuid_23f41b4f055be160
	.amdgpu_metadata
---
amdhsa.kernels:
  - .args:           []
    .group_segment_fixed_size: 0
    .kernarg_segment_align: 4
    .kernarg_segment_size: 0
    .language:       OpenCL C
    .language_version:
      - 2
      - 0
    .max_flat_workgroup_size: 1024
    .name:           _ZN2ckL12flush_icacheEv
    .private_segment_fixed_size: 0
    .sgpr_count:     0
    .sgpr_spill_count: 0
    .symbol:         _ZN2ckL12flush_icacheEv.kd
    .uniform_work_group_size: 1
    .uses_dynamic_stack: false
    .vgpr_count:     0
    .vgpr_spill_count: 0
    .wavefront_size: 32
    .workgroup_processor_mode: 1
  - .args:
      - .offset:         0
        .size:           96
        .value_kind:     by_value
    .group_segment_fixed_size: 0
    .kernarg_segment_align: 8
    .kernarg_segment_size: 96
    .language:       OpenCL C
    .language_version:
      - 2
      - 0
    .max_flat_workgroup_size: 256
    .name:           _ZN2ck27kernel_gemm_xdl_cshuffle_v1INS_43GridwiseGemm_k0mk1_k0nk1_mn_xdl_cshuffle_v1INS_13tensor_layout4gemm8RowMajorENS3_11ColumnMajorES4_NS_9f8_fnuz_tENS_10bf8_fnuz_tEffDF16_NS_16tensor_operation12element_wise11PassThroughESA_SA_LNS8_6device18GemmSpecializationE0ELNS_25InMemoryDataOperationEnumE0ELi1ELi256ELi256ELi128ELi64ELi16ELi16ELi16ELi16ELi8ELi4ENS_8SequenceIJLi4ELi64ELi1EEEENSE_IJLi1ELi0ELi2EEEESG_Li2ELi16ELi16ELb0ELi1ESF_SG_SG_Li2ELi8ELi8ELb0ELi1ELi1ELi1ENSE_IJLi1ELi32ELi1ELi8EEEELi4ELNS_13LoopSchedulerE0ELNS_15PipelineVersionE0ES6_S7_EELb1EEEvNT_8ArgumentE
    .private_segment_fixed_size: 0
    .sgpr_count:     0
    .sgpr_spill_count: 0
    .symbol:         _ZN2ck27kernel_gemm_xdl_cshuffle_v1INS_43GridwiseGemm_k0mk1_k0nk1_mn_xdl_cshuffle_v1INS_13tensor_layout4gemm8RowMajorENS3_11ColumnMajorES4_NS_9f8_fnuz_tENS_10bf8_fnuz_tEffDF16_NS_16tensor_operation12element_wise11PassThroughESA_SA_LNS8_6device18GemmSpecializationE0ELNS_25InMemoryDataOperationEnumE0ELi1ELi256ELi256ELi128ELi64ELi16ELi16ELi16ELi16ELi8ELi4ENS_8SequenceIJLi4ELi64ELi1EEEENSE_IJLi1ELi0ELi2EEEESG_Li2ELi16ELi16ELb0ELi1ESF_SG_SG_Li2ELi8ELi8ELb0ELi1ELi1ELi1ENSE_IJLi1ELi32ELi1ELi8EEEELi4ELNS_13LoopSchedulerE0ELNS_15PipelineVersionE0ES6_S7_EELb1EEEvNT_8ArgumentE.kd
    .uniform_work_group_size: 1
    .uses_dynamic_stack: false
    .vgpr_count:     0
    .vgpr_spill_count: 0
    .wavefront_size: 32
    .workgroup_processor_mode: 1
  - .args:
      - .offset:         0
        .size:           96
        .value_kind:     by_value
    .group_segment_fixed_size: 0
    .kernarg_segment_align: 8
    .kernarg_segment_size: 96
    .language:       OpenCL C
    .language_version:
      - 2
      - 0
    .max_flat_workgroup_size: 256
    .name:           _ZN2ck27kernel_gemm_xdl_cshuffle_v1INS_43GridwiseGemm_k0mk1_k0nk1_mn_xdl_cshuffle_v1INS_13tensor_layout4gemm8RowMajorENS3_11ColumnMajorES4_NS_9f8_fnuz_tENS_10bf8_fnuz_tEffDF16_NS_16tensor_operation12element_wise11PassThroughESA_SA_LNS8_6device18GemmSpecializationE0ELNS_25InMemoryDataOperationEnumE0ELi1ELi256ELi256ELi128ELi64ELi16ELi16ELi16ELi16ELi8ELi4ENS_8SequenceIJLi4ELi64ELi1EEEENSE_IJLi1ELi0ELi2EEEESG_Li2ELi16ELi16ELb0ELi1ESF_SG_SG_Li2ELi8ELi8ELb0ELi1ELi1ELi1ENSE_IJLi1ELi32ELi1ELi8EEEELi4ELNS_13LoopSchedulerE0ELNS_15PipelineVersionE0ES6_S7_EELb0EEEvNT_8ArgumentE
    .private_segment_fixed_size: 0
    .sgpr_count:     0
    .sgpr_spill_count: 0
    .symbol:         _ZN2ck27kernel_gemm_xdl_cshuffle_v1INS_43GridwiseGemm_k0mk1_k0nk1_mn_xdl_cshuffle_v1INS_13tensor_layout4gemm8RowMajorENS3_11ColumnMajorES4_NS_9f8_fnuz_tENS_10bf8_fnuz_tEffDF16_NS_16tensor_operation12element_wise11PassThroughESA_SA_LNS8_6device18GemmSpecializationE0ELNS_25InMemoryDataOperationEnumE0ELi1ELi256ELi256ELi128ELi64ELi16ELi16ELi16ELi16ELi8ELi4ENS_8SequenceIJLi4ELi64ELi1EEEENSE_IJLi1ELi0ELi2EEEESG_Li2ELi16ELi16ELb0ELi1ESF_SG_SG_Li2ELi8ELi8ELb0ELi1ELi1ELi1ENSE_IJLi1ELi32ELi1ELi8EEEELi4ELNS_13LoopSchedulerE0ELNS_15PipelineVersionE0ES6_S7_EELb0EEEvNT_8ArgumentE.kd
    .uniform_work_group_size: 1
    .uses_dynamic_stack: false
    .vgpr_count:     0
    .vgpr_spill_count: 0
    .wavefront_size: 32
    .workgroup_processor_mode: 1
  - .args:
      - .offset:         0
        .size:           96
        .value_kind:     by_value
    .group_segment_fixed_size: 24672
    .kernarg_segment_align: 8
    .kernarg_segment_size: 96
    .language:       OpenCL C
    .language_version:
      - 2
      - 0
    .max_flat_workgroup_size: 256
    .name:           _ZN2ck27kernel_gemm_xdl_cshuffle_v1INS_43GridwiseGemm_k0mk1_k0nk1_mn_xdl_cshuffle_v1INS_13tensor_layout4gemm8RowMajorENS3_11ColumnMajorES4_NS_9f8_fnuz_tENS_10bf8_fnuz_tEffDF16_NS_16tensor_operation12element_wise11PassThroughESA_SA_LNS8_6device18GemmSpecializationE0ELNS_25InMemoryDataOperationEnumE0ELi1ELi256ELi256ELi128ELi64ELi16ELi16ELi16ELi16ELi8ELi2ENS_8SequenceIJLi4ELi64ELi1EEEENSE_IJLi1ELi0ELi2EEEESG_Li2ELi16ELi16ELb0ELi1ESF_SG_SG_Li2ELi8ELi8ELb0ELi1ELi1ELi1ENSE_IJLi1ELi32ELi1ELi8EEEELi4ELNS_13LoopSchedulerE0ELNS_15PipelineVersionE0ES6_S7_EELb1EEEvNT_8ArgumentE
    .private_segment_fixed_size: 0
    .sgpr_count:     24
    .sgpr_spill_count: 0
    .symbol:         _ZN2ck27kernel_gemm_xdl_cshuffle_v1INS_43GridwiseGemm_k0mk1_k0nk1_mn_xdl_cshuffle_v1INS_13tensor_layout4gemm8RowMajorENS3_11ColumnMajorES4_NS_9f8_fnuz_tENS_10bf8_fnuz_tEffDF16_NS_16tensor_operation12element_wise11PassThroughESA_SA_LNS8_6device18GemmSpecializationE0ELNS_25InMemoryDataOperationEnumE0ELi1ELi256ELi256ELi128ELi64ELi16ELi16ELi16ELi16ELi8ELi2ENS_8SequenceIJLi4ELi64ELi1EEEENSE_IJLi1ELi0ELi2EEEESG_Li2ELi16ELi16ELb0ELi1ESF_SG_SG_Li2ELi8ELi8ELb0ELi1ELi1ELi1ENSE_IJLi1ELi32ELi1ELi8EEEELi4ELNS_13LoopSchedulerE0ELNS_15PipelineVersionE0ES6_S7_EELb1EEEvNT_8ArgumentE.kd
    .uniform_work_group_size: 1
    .uses_dynamic_stack: false
    .vgpr_count:     47
    .vgpr_spill_count: 0
    .wavefront_size: 32
    .workgroup_processor_mode: 1
  - .args:
      - .offset:         0
        .size:           96
        .value_kind:     by_value
    .group_segment_fixed_size: 24672
    .kernarg_segment_align: 8
    .kernarg_segment_size: 96
    .language:       OpenCL C
    .language_version:
      - 2
      - 0
    .max_flat_workgroup_size: 256
    .name:           _ZN2ck27kernel_gemm_xdl_cshuffle_v1INS_43GridwiseGemm_k0mk1_k0nk1_mn_xdl_cshuffle_v1INS_13tensor_layout4gemm8RowMajorENS3_11ColumnMajorES4_NS_9f8_fnuz_tENS_10bf8_fnuz_tEffDF16_NS_16tensor_operation12element_wise11PassThroughESA_SA_LNS8_6device18GemmSpecializationE0ELNS_25InMemoryDataOperationEnumE0ELi1ELi256ELi256ELi128ELi64ELi16ELi16ELi16ELi16ELi8ELi2ENS_8SequenceIJLi4ELi64ELi1EEEENSE_IJLi1ELi0ELi2EEEESG_Li2ELi16ELi16ELb0ELi1ESF_SG_SG_Li2ELi8ELi8ELb0ELi1ELi1ELi1ENSE_IJLi1ELi32ELi1ELi8EEEELi4ELNS_13LoopSchedulerE0ELNS_15PipelineVersionE0ES6_S7_EELb0EEEvNT_8ArgumentE
    .private_segment_fixed_size: 0
    .sgpr_count:     19
    .sgpr_spill_count: 0
    .symbol:         _ZN2ck27kernel_gemm_xdl_cshuffle_v1INS_43GridwiseGemm_k0mk1_k0nk1_mn_xdl_cshuffle_v1INS_13tensor_layout4gemm8RowMajorENS3_11ColumnMajorES4_NS_9f8_fnuz_tENS_10bf8_fnuz_tEffDF16_NS_16tensor_operation12element_wise11PassThroughESA_SA_LNS8_6device18GemmSpecializationE0ELNS_25InMemoryDataOperationEnumE0ELi1ELi256ELi256ELi128ELi64ELi16ELi16ELi16ELi16ELi8ELi2ENS_8SequenceIJLi4ELi64ELi1EEEENSE_IJLi1ELi0ELi2EEEESG_Li2ELi16ELi16ELb0ELi1ESF_SG_SG_Li2ELi8ELi8ELb0ELi1ELi1ELi1ENSE_IJLi1ELi32ELi1ELi8EEEELi4ELNS_13LoopSchedulerE0ELNS_15PipelineVersionE0ES6_S7_EELb0EEEvNT_8ArgumentE.kd
    .uniform_work_group_size: 1
    .uses_dynamic_stack: false
    .vgpr_count:     43
    .vgpr_spill_count: 0
    .wavefront_size: 32
    .workgroup_processor_mode: 1
  - .args:
      - .actual_access:  read_only
        .address_space:  global
        .offset:         0
        .size:           8
        .value_kind:     global_buffer
      - .actual_access:  read_only
        .address_space:  global
        .offset:         8
        .size:           8
        .value_kind:     global_buffer
      - .actual_access:  write_only
        .address_space:  global
        .offset:         16
        .size:           8
        .value_kind:     global_buffer
      - .offset:         24
        .size:           4
        .value_kind:     by_value
      - .offset:         28
        .size:           4
        .value_kind:     by_value
      - .offset:         32
        .size:           4
        .value_kind:     by_value
      - .offset:         36
        .size:           1
        .value_kind:     by_value
      - .offset:         37
        .size:           1
        .value_kind:     by_value
      - .offset:         38
        .size:           1
        .value_kind:     by_value
      - .offset:         40
        .size:           4
        .value_kind:     hidden_block_count_x
      - .offset:         44
        .size:           4
        .value_kind:     hidden_block_count_y
      - .offset:         48
        .size:           4
        .value_kind:     hidden_block_count_z
      - .offset:         52
        .size:           2
        .value_kind:     hidden_group_size_x
      - .offset:         54
        .size:           2
        .value_kind:     hidden_group_size_y
      - .offset:         56
        .size:           2
        .value_kind:     hidden_group_size_z
      - .offset:         58
        .size:           2
        .value_kind:     hidden_remainder_x
      - .offset:         60
        .size:           2
        .value_kind:     hidden_remainder_y
      - .offset:         62
        .size:           2
        .value_kind:     hidden_remainder_z
      - .offset:         80
        .size:           8
        .value_kind:     hidden_global_offset_x
      - .offset:         88
        .size:           8
        .value_kind:     hidden_global_offset_y
      - .offset:         96
        .size:           8
        .value_kind:     hidden_global_offset_z
      - .offset:         104
        .size:           2
        .value_kind:     hidden_grid_dims
    .group_segment_fixed_size: 0
    .kernarg_segment_align: 8
    .kernarg_segment_size: 296
    .language:       OpenCL C
    .language_version:
      - 2
      - 0
    .max_flat_workgroup_size: 256
    .name:           _ZN2ck17naive_gemm_kernelINS_13tensor_layout4gemm8RowMajorENS2_11ColumnMajorES3_NS_9f8_fnuz_tENS_10bf8_fnuz_tEDF16_fNS_16tensor_operation12element_wise11PassThroughES9_S9_DF16_DF16_EEvPKT2_PKT3_PT4_iiiT6_T7_T8_
    .private_segment_fixed_size: 0
    .sgpr_count:     18
    .sgpr_spill_count: 0
    .symbol:         _ZN2ck17naive_gemm_kernelINS_13tensor_layout4gemm8RowMajorENS2_11ColumnMajorES3_NS_9f8_fnuz_tENS_10bf8_fnuz_tEDF16_fNS_16tensor_operation12element_wise11PassThroughES9_S9_DF16_DF16_EEvPKT2_PKT3_PT4_iiiT6_T7_T8_.kd
    .uniform_work_group_size: 1
    .uses_dynamic_stack: false
    .vgpr_count:     13
    .vgpr_spill_count: 0
    .wavefront_size: 32
    .workgroup_processor_mode: 1
amdhsa.target:   amdgcn-amd-amdhsa--gfx1100
amdhsa.version:
  - 1
  - 2
...

	.end_amdgpu_metadata
